;; amdgpu-corpus repo=ROCm/rocFFT kind=compiled arch=gfx1030 opt=O3
	.text
	.amdgcn_target "amdgcn-amd-amdhsa--gfx1030"
	.amdhsa_code_object_version 6
	.protected	fft_rtc_back_len480_factors_10_8_6_wgs_64_tpt_16_halfLds_dp_op_CI_CI_unitstride_sbrr_C2R_dirReg ; -- Begin function fft_rtc_back_len480_factors_10_8_6_wgs_64_tpt_16_halfLds_dp_op_CI_CI_unitstride_sbrr_C2R_dirReg
	.globl	fft_rtc_back_len480_factors_10_8_6_wgs_64_tpt_16_halfLds_dp_op_CI_CI_unitstride_sbrr_C2R_dirReg
	.p2align	8
	.type	fft_rtc_back_len480_factors_10_8_6_wgs_64_tpt_16_halfLds_dp_op_CI_CI_unitstride_sbrr_C2R_dirReg,@function
fft_rtc_back_len480_factors_10_8_6_wgs_64_tpt_16_halfLds_dp_op_CI_CI_unitstride_sbrr_C2R_dirReg: ; @fft_rtc_back_len480_factors_10_8_6_wgs_64_tpt_16_halfLds_dp_op_CI_CI_unitstride_sbrr_C2R_dirReg
; %bb.0:
	s_clause 0x2
	s_load_dwordx4 s[12:15], s[4:5], 0x0
	s_load_dwordx4 s[8:11], s[4:5], 0x58
	;; [unrolled: 1-line block ×3, first 2 shown]
	v_lshrrev_b32_e32 v7, 4, v0
	v_mov_b32_e32 v3, 0
	s_mov_b64 s[30:31], s[2:3]
	s_mov_b64 s[28:29], s[0:1]
	v_mov_b32_e32 v1, 0
	v_lshl_or_b32 v5, s6, 2, v7
	v_mov_b32_e32 v6, v3
	v_mov_b32_e32 v2, 0
	s_add_u32 s28, s28, s7
	s_addc_u32 s29, s29, 0
	s_waitcnt lgkmcnt(0)
	v_cmp_lt_u64_e64 s0, s[14:15], 2
	s_and_b32 vcc_lo, exec_lo, s0
	s_cbranch_vccnz .LBB0_8
; %bb.1:
	s_load_dwordx2 s[0:1], s[4:5], 0x10
	v_mov_b32_e32 v1, 0
	v_mov_b32_e32 v2, 0
	s_add_u32 s2, s18, 8
	s_addc_u32 s3, s19, 0
	s_add_u32 s6, s16, 8
	s_addc_u32 s7, s17, 0
	v_mov_b32_e32 v131, v2
	v_mov_b32_e32 v130, v1
	s_mov_b64 s[22:23], 1
	s_waitcnt lgkmcnt(0)
	s_add_u32 s20, s0, 8
	s_addc_u32 s21, s1, 0
.LBB0_2:                                ; =>This Inner Loop Header: Depth=1
	s_load_dwordx2 s[24:25], s[20:21], 0x0
                                        ; implicit-def: $vgpr132_vgpr133
	s_mov_b32 s0, exec_lo
	s_waitcnt lgkmcnt(0)
	v_or_b32_e32 v4, s25, v6
	v_cmpx_ne_u64_e32 0, v[3:4]
	s_xor_b32 s1, exec_lo, s0
	s_cbranch_execz .LBB0_4
; %bb.3:                                ;   in Loop: Header=BB0_2 Depth=1
	v_cvt_f32_u32_e32 v4, s24
	v_cvt_f32_u32_e32 v8, s25
	s_sub_u32 s0, 0, s24
	s_subb_u32 s26, 0, s25
	v_fmac_f32_e32 v4, 0x4f800000, v8
	v_rcp_f32_e32 v4, v4
	v_mul_f32_e32 v4, 0x5f7ffffc, v4
	v_mul_f32_e32 v8, 0x2f800000, v4
	v_trunc_f32_e32 v8, v8
	v_fmac_f32_e32 v4, 0xcf800000, v8
	v_cvt_u32_f32_e32 v8, v8
	v_cvt_u32_f32_e32 v4, v4
	v_mul_lo_u32 v9, s0, v8
	v_mul_hi_u32 v10, s0, v4
	v_mul_lo_u32 v11, s26, v4
	v_add_nc_u32_e32 v9, v10, v9
	v_mul_lo_u32 v10, s0, v4
	v_add_nc_u32_e32 v9, v9, v11
	v_mul_hi_u32 v11, v4, v10
	v_mul_lo_u32 v12, v4, v9
	v_mul_hi_u32 v13, v4, v9
	v_mul_hi_u32 v14, v8, v10
	v_mul_lo_u32 v10, v8, v10
	v_mul_hi_u32 v15, v8, v9
	v_mul_lo_u32 v9, v8, v9
	v_add_co_u32 v11, vcc_lo, v11, v12
	v_add_co_ci_u32_e32 v12, vcc_lo, 0, v13, vcc_lo
	v_add_co_u32 v10, vcc_lo, v11, v10
	v_add_co_ci_u32_e32 v10, vcc_lo, v12, v14, vcc_lo
	v_add_co_ci_u32_e32 v11, vcc_lo, 0, v15, vcc_lo
	v_add_co_u32 v9, vcc_lo, v10, v9
	v_add_co_ci_u32_e32 v10, vcc_lo, 0, v11, vcc_lo
	v_add_co_u32 v4, vcc_lo, v4, v9
	v_add_co_ci_u32_e32 v8, vcc_lo, v8, v10, vcc_lo
	v_mul_hi_u32 v9, s0, v4
	v_mul_lo_u32 v11, s26, v4
	v_mul_lo_u32 v10, s0, v8
	v_add_nc_u32_e32 v9, v9, v10
	v_mul_lo_u32 v10, s0, v4
	v_add_nc_u32_e32 v9, v9, v11
	v_mul_hi_u32 v11, v4, v10
	v_mul_lo_u32 v12, v4, v9
	v_mul_hi_u32 v13, v4, v9
	v_mul_hi_u32 v14, v8, v10
	v_mul_lo_u32 v10, v8, v10
	v_mul_hi_u32 v15, v8, v9
	v_mul_lo_u32 v9, v8, v9
	v_add_co_u32 v11, vcc_lo, v11, v12
	v_add_co_ci_u32_e32 v12, vcc_lo, 0, v13, vcc_lo
	v_add_co_u32 v10, vcc_lo, v11, v10
	v_add_co_ci_u32_e32 v10, vcc_lo, v12, v14, vcc_lo
	v_add_co_ci_u32_e32 v11, vcc_lo, 0, v15, vcc_lo
	v_add_co_u32 v9, vcc_lo, v10, v9
	v_add_co_ci_u32_e32 v10, vcc_lo, 0, v11, vcc_lo
	v_add_co_u32 v4, vcc_lo, v4, v9
	v_add_co_ci_u32_e32 v12, vcc_lo, v8, v10, vcc_lo
	v_mul_hi_u32 v14, v5, v4
	v_mad_u64_u32 v[10:11], null, v6, v4, 0
	v_mad_u64_u32 v[8:9], null, v5, v12, 0
	;; [unrolled: 1-line block ×3, first 2 shown]
	v_add_co_u32 v4, vcc_lo, v14, v8
	v_add_co_ci_u32_e32 v8, vcc_lo, 0, v9, vcc_lo
	v_add_co_u32 v4, vcc_lo, v4, v10
	v_add_co_ci_u32_e32 v4, vcc_lo, v8, v11, vcc_lo
	v_add_co_ci_u32_e32 v8, vcc_lo, 0, v13, vcc_lo
	v_add_co_u32 v4, vcc_lo, v4, v12
	v_add_co_ci_u32_e32 v10, vcc_lo, 0, v8, vcc_lo
	v_mul_lo_u32 v11, s25, v4
	v_mad_u64_u32 v[8:9], null, s24, v4, 0
	v_mul_lo_u32 v12, s24, v10
	v_sub_co_u32 v8, vcc_lo, v5, v8
	v_add3_u32 v9, v9, v12, v11
	v_sub_nc_u32_e32 v11, v6, v9
	v_subrev_co_ci_u32_e64 v11, s0, s25, v11, vcc_lo
	v_add_co_u32 v12, s0, v4, 2
	v_add_co_ci_u32_e64 v13, s0, 0, v10, s0
	v_sub_co_u32 v14, s0, v8, s24
	v_sub_co_ci_u32_e32 v9, vcc_lo, v6, v9, vcc_lo
	v_subrev_co_ci_u32_e64 v11, s0, 0, v11, s0
	v_cmp_le_u32_e32 vcc_lo, s24, v14
	v_cmp_eq_u32_e64 s0, s25, v9
	v_cndmask_b32_e64 v14, 0, -1, vcc_lo
	v_cmp_le_u32_e32 vcc_lo, s25, v11
	v_cndmask_b32_e64 v15, 0, -1, vcc_lo
	v_cmp_le_u32_e32 vcc_lo, s24, v8
	;; [unrolled: 2-line block ×3, first 2 shown]
	v_cndmask_b32_e64 v16, 0, -1, vcc_lo
	v_cmp_eq_u32_e32 vcc_lo, s25, v11
	v_cndmask_b32_e64 v8, v16, v8, s0
	v_cndmask_b32_e32 v11, v15, v14, vcc_lo
	v_add_co_u32 v14, vcc_lo, v4, 1
	v_add_co_ci_u32_e32 v15, vcc_lo, 0, v10, vcc_lo
	v_cmp_ne_u32_e32 vcc_lo, 0, v11
	v_cndmask_b32_e32 v9, v15, v13, vcc_lo
	v_cndmask_b32_e32 v11, v14, v12, vcc_lo
	v_cmp_ne_u32_e32 vcc_lo, 0, v8
	v_cndmask_b32_e32 v133, v10, v9, vcc_lo
	v_cndmask_b32_e32 v132, v4, v11, vcc_lo
.LBB0_4:                                ;   in Loop: Header=BB0_2 Depth=1
	s_andn2_saveexec_b32 s0, s1
	s_cbranch_execz .LBB0_6
; %bb.5:                                ;   in Loop: Header=BB0_2 Depth=1
	v_cvt_f32_u32_e32 v4, s24
	s_sub_i32 s1, 0, s24
	v_mov_b32_e32 v133, v3
	v_rcp_iflag_f32_e32 v4, v4
	v_mul_f32_e32 v4, 0x4f7ffffe, v4
	v_cvt_u32_f32_e32 v4, v4
	v_mul_lo_u32 v8, s1, v4
	v_mul_hi_u32 v8, v4, v8
	v_add_nc_u32_e32 v4, v4, v8
	v_mul_hi_u32 v4, v5, v4
	v_mul_lo_u32 v8, v4, s24
	v_add_nc_u32_e32 v9, 1, v4
	v_sub_nc_u32_e32 v8, v5, v8
	v_subrev_nc_u32_e32 v10, s24, v8
	v_cmp_le_u32_e32 vcc_lo, s24, v8
	v_cndmask_b32_e32 v8, v8, v10, vcc_lo
	v_cndmask_b32_e32 v4, v4, v9, vcc_lo
	v_cmp_le_u32_e32 vcc_lo, s24, v8
	v_add_nc_u32_e32 v9, 1, v4
	v_cndmask_b32_e32 v132, v4, v9, vcc_lo
.LBB0_6:                                ;   in Loop: Header=BB0_2 Depth=1
	s_or_b32 exec_lo, exec_lo, s0
	v_mul_lo_u32 v4, v133, s24
	v_mul_lo_u32 v10, v132, s25
	s_load_dwordx2 s[0:1], s[6:7], 0x0
	v_mad_u64_u32 v[8:9], null, v132, s24, 0
	s_load_dwordx2 s[24:25], s[2:3], 0x0
	s_add_u32 s22, s22, 1
	s_addc_u32 s23, s23, 0
	s_add_u32 s2, s2, 8
	s_addc_u32 s3, s3, 0
	s_add_u32 s6, s6, 8
	v_add3_u32 v4, v9, v10, v4
	v_sub_co_u32 v5, vcc_lo, v5, v8
	s_addc_u32 s7, s7, 0
	s_add_u32 s20, s20, 8
	v_sub_co_ci_u32_e32 v4, vcc_lo, v6, v4, vcc_lo
	s_addc_u32 s21, s21, 0
	s_waitcnt lgkmcnt(0)
	v_mul_lo_u32 v6, s0, v4
	v_mul_lo_u32 v8, s1, v5
	v_mad_u64_u32 v[1:2], null, s0, v5, v[1:2]
	v_mul_lo_u32 v4, s24, v4
	v_mul_lo_u32 v9, s25, v5
	v_mad_u64_u32 v[130:131], null, s24, v5, v[130:131]
	v_cmp_ge_u64_e64 s0, s[22:23], s[14:15]
	v_add3_u32 v2, v8, v2, v6
	v_add3_u32 v131, v9, v131, v4
	s_and_b32 vcc_lo, exec_lo, s0
	s_cbranch_vccnz .LBB0_9
; %bb.7:                                ;   in Loop: Header=BB0_2 Depth=1
	v_mov_b32_e32 v5, v132
	v_mov_b32_e32 v6, v133
	s_branch .LBB0_2
.LBB0_8:
	v_mov_b32_e32 v131, v2
	v_mov_b32_e32 v133, v6
	;; [unrolled: 1-line block ×4, first 2 shown]
.LBB0_9:
	s_load_dwordx2 s[0:1], s[4:5], 0x28
	s_lshl_b64 s[4:5], s[14:15], 3
	v_and_b32_e32 v128, 15, v0
	s_add_u32 s2, s18, s4
	s_addc_u32 s3, s19, s5
	s_waitcnt lgkmcnt(0)
	v_cmp_gt_u64_e32 vcc_lo, s[0:1], v[132:133]
	v_cmp_le_u64_e64 s0, s[0:1], v[132:133]
	s_and_saveexec_b32 s1, s0
	s_xor_b32 s0, exec_lo, s1
; %bb.10:
	v_and_b32_e32 v128, 15, v0
                                        ; implicit-def: $vgpr1_vgpr2
; %bb.11:
	s_or_saveexec_b32 s1, s0
	s_load_dwordx2 s[2:3], s[2:3], 0x0
	v_mul_u32_u24_e32 v124, 0x1e1, v7
	v_lshlrev_b32_e32 v255, 4, v124
	s_xor_b32 exec_lo, exec_lo, s1
	s_cbranch_execz .LBB0_15
; %bb.12:
	s_add_u32 s4, s16, s4
	s_addc_u32 s5, s17, s5
	v_lshlrev_b32_e32 v123, 4, v128
	s_load_dwordx2 s[4:5], s[4:5], 0x0
	v_or_b32_e32 v6, 0x900, v123
	v_or_b32_e32 v7, 0xa00, v123
	;; [unrolled: 1-line block ×16, first 2 shown]
	s_waitcnt lgkmcnt(0)
	v_mul_lo_u32 v0, s5, v132
	v_mul_lo_u32 v5, s4, v133
	v_mad_u64_u32 v[3:4], null, s4, v132, 0
	v_or_b32_e32 v89, 0x1c00, v123
	v_or_b32_e32 v90, 0x1d00, v123
	v_add3_u32 v4, v4, v5, v0
	v_lshlrev_b64 v[0:1], 4, v[1:2]
	v_or_b32_e32 v5, 0x800, v123
	v_lshlrev_b64 v[2:3], 4, v[3:4]
	v_or_b32_e32 v4, 0xb00, v123
	v_add_co_u32 v2, s0, s8, v2
	v_add_co_ci_u32_e64 v3, s0, s9, v3, s0
	v_add_co_u32 v0, s0, v2, v0
	v_add_co_ci_u32_e64 v1, s0, v3, v1, s0
	v_or_b32_e32 v2, 0x1000, v123
	v_add_co_u32 v31, s0, v0, v123
	v_add_co_ci_u32_e64 v32, s0, 0, v1, s0
	v_add_co_u32 v35, s0, v0, v5
	v_add_co_ci_u32_e64 v36, s0, 0, v1, s0
	;; [unrolled: 2-line block ×9, first 2 shown]
	v_add_co_u32 v67, s0, v0, v2
	v_or_b32_e32 v2, 0x1100, v123
	v_add_co_ci_u32_e64 v68, s0, 0, v1, s0
	s_clause 0xb
	global_load_dwordx4 v[3:6], v[31:32], off
	global_load_dwordx4 v[7:10], v[31:32], off offset:256
	global_load_dwordx4 v[11:14], v[31:32], off offset:512
	;; [unrolled: 1-line block ×7, first 2 shown]
	global_load_dwordx4 v[35:38], v[35:36], off
	global_load_dwordx4 v[39:42], v[39:40], off
	;; [unrolled: 1-line block ×4, first 2 shown]
	v_add_co_u32 v71, s0, v0, v2
	v_add_co_ci_u32_e64 v72, s0, 0, v1, s0
	v_add_co_u32 v75, s0, v0, v69
	v_add_co_ci_u32_e64 v76, s0, 0, v1, s0
	;; [unrolled: 2-line block ×13, first 2 shown]
	s_clause 0x11
	global_load_dwordx4 v[51:54], v[51:52], off
	global_load_dwordx4 v[55:58], v[55:56], off
	;; [unrolled: 1-line block ×18, first 2 shown]
	v_add3_u32 v2, 0, v255, v123
	v_cmp_eq_u32_e64 s0, 15, v128
	s_waitcnt vmcnt(29)
	ds_write_b128 v2, v[3:6]
	s_waitcnt vmcnt(28)
	ds_write_b128 v2, v[7:10] offset:256
	s_waitcnt vmcnt(27)
	ds_write_b128 v2, v[11:14] offset:512
	;; [unrolled: 2-line block ×29, first 2 shown]
	s_and_saveexec_b32 s4, s0
	s_cbranch_execz .LBB0_14
; %bb.13:
	v_add_co_u32 v0, s0, 0x1800, v0
	v_add_co_ci_u32_e64 v1, s0, 0, v1, s0
	v_mov_b32_e32 v128, 15
	global_load_dwordx4 v[3:6], v[0:1], off offset:1536
	s_waitcnt vmcnt(0)
	ds_write_b128 v2, v[3:6] offset:7440
.LBB0_14:
	s_or_b32 exec_lo, exec_lo, s4
.LBB0_15:
	s_or_b32 exec_lo, exec_lo, s1
	v_lshl_add_u32 v1, v124, 4, 0
	v_lshlrev_b32_e32 v0, 4, v128
	buffer_store_dword v124, off, s[28:31], 0 ; 4-byte Folded Spill
	s_add_u32 s1, s12, 0x1d60
	s_addc_u32 s4, s13, 0
	buffer_store_dword v1, off, s[28:31], 0 offset:20 ; 4-byte Folded Spill
	v_add_nc_u32_e32 v186, v1, v0
	v_sub_nc_u32_e32 v10, v1, v0
	s_waitcnt lgkmcnt(0)
	s_waitcnt_vscnt null, 0x0
	s_barrier
	buffer_gl0_inv
	ds_read_b64 v[6:7], v186
	ds_read_b64 v[8:9], v10 offset:7680
	s_mov_b32 s5, exec_lo
                                        ; implicit-def: $vgpr4_vgpr5
	s_waitcnt lgkmcnt(0)
	v_add_f64 v[0:1], v[6:7], v[8:9]
	v_add_f64 v[2:3], v[6:7], -v[8:9]
	v_cmpx_ne_u32_e32 0, v128
	s_xor_b32 s5, exec_lo, s5
	s_cbranch_execz .LBB0_17
; %bb.16:
	v_mov_b32_e32 v129, 0
	v_add_f64 v[13:14], v[6:7], v[8:9]
	v_add_f64 v[15:16], v[6:7], -v[8:9]
	v_lshlrev_b64 v[0:1], 4, v[128:129]
	v_add_co_u32 v0, s0, s1, v0
	v_add_co_ci_u32_e64 v1, s0, s4, v1, s0
	global_load_dwordx4 v[2:5], v[0:1], off
	ds_read_b64 v[0:1], v10 offset:7688
	ds_read_b64 v[11:12], v186 offset:8
	s_waitcnt lgkmcnt(0)
	v_add_f64 v[6:7], v[0:1], v[11:12]
	v_add_f64 v[0:1], v[11:12], -v[0:1]
	s_waitcnt vmcnt(0)
	v_fma_f64 v[8:9], v[15:16], v[4:5], v[13:14]
	v_fma_f64 v[11:12], -v[15:16], v[4:5], v[13:14]
	v_fma_f64 v[13:14], v[6:7], v[4:5], -v[0:1]
	v_fma_f64 v[4:5], v[6:7], v[4:5], v[0:1]
	v_fma_f64 v[0:1], -v[6:7], v[2:3], v[8:9]
	v_fma_f64 v[6:7], v[6:7], v[2:3], v[11:12]
	v_fma_f64 v[8:9], v[15:16], v[2:3], v[13:14]
	;; [unrolled: 1-line block ×3, first 2 shown]
	v_mov_b32_e32 v4, v128
	v_mov_b32_e32 v5, v129
	ds_write_b128 v10, v[6:9] offset:7680
.LBB0_17:
	s_andn2_saveexec_b32 s0, s5
	s_cbranch_execz .LBB0_19
; %bb.18:
	buffer_load_dword v4, off, s[28:31], 0  ; 4-byte Folded Reload
	s_waitcnt vmcnt(0)
	v_lshl_add_u32 v8, v4, 4, 0
	ds_read_b128 v[4:7], v8 offset:3840
	s_waitcnt lgkmcnt(0)
	v_add_f64 v[11:12], v[4:5], v[4:5]
	v_mul_f64 v[13:14], v[6:7], -2.0
	v_mov_b32_e32 v4, 0
	v_mov_b32_e32 v5, 0
	ds_write_b128 v8, v[11:14] offset:3840
.LBB0_19:
	s_or_b32 exec_lo, exec_lo, s0
	v_lshlrev_b64 v[4:5], 4, v[4:5]
	v_or_b32_e32 v134, 0x80, v128
	v_mov_b32_e32 v135, 0
	s_mov_b32 s6, 0x134454ff
	s_mov_b32 s7, 0xbfee6f0e
	s_mov_b32 s8, 0x4755a5e
	v_add_co_u32 v27, s0, s1, v4
	v_add_co_ci_u32_e64 v28, s0, s4, v5, s0
	s_mov_b32 s9, 0xbfe2cf23
	s_mov_b32 s5, 0x3fe2cf23
	;; [unrolled: 1-line block ×3, first 2 shown]
	s_clause 0x2
	global_load_dwordx4 v[4:7], v[27:28], off offset:256
	global_load_dwordx4 v[11:14], v[27:28], off offset:512
	;; [unrolled: 1-line block ×3, first 2 shown]
	ds_write_b128 v186, v[0:3]
	ds_read_b128 v[0:3], v186 offset:256
	ds_read_b128 v[19:22], v10 offset:7424
	global_load_dwordx4 v[23:26], v[27:28], off offset:1024
	s_mov_b32 s15, 0x3fd3c6ef
	s_mov_b32 s18, 0x9b97f4a8
	;; [unrolled: 1-line block ×7, first 2 shown]
	s_waitcnt lgkmcnt(0)
	v_add_f64 v[8:9], v[0:1], v[19:20]
	v_add_f64 v[29:30], v[21:22], v[2:3]
	v_add_f64 v[19:20], v[0:1], -v[19:20]
	v_add_f64 v[0:1], v[2:3], -v[21:22]
	s_waitcnt vmcnt(3)
	v_fma_f64 v[2:3], v[19:20], v[6:7], v[8:9]
	v_fma_f64 v[21:22], v[29:30], v[6:7], v[0:1]
	v_fma_f64 v[8:9], -v[19:20], v[6:7], v[8:9]
	v_fma_f64 v[31:32], v[29:30], v[6:7], -v[0:1]
	v_fma_f64 v[0:1], -v[29:30], v[4:5], v[2:3]
	v_fma_f64 v[2:3], v[19:20], v[4:5], v[21:22]
	v_fma_f64 v[6:7], v[29:30], v[4:5], v[8:9]
	v_fma_f64 v[8:9], v[19:20], v[4:5], v[31:32]
	ds_write_b128 v186, v[0:3] offset:256
	ds_write_b128 v10, v[6:9] offset:7424
	ds_read_b128 v[0:3], v186 offset:512
	ds_read_b128 v[4:7], v10 offset:7168
	global_load_dwordx4 v[19:22], v[27:28], off offset:1280
	s_waitcnt lgkmcnt(0)
	v_add_f64 v[8:9], v[0:1], v[4:5]
	v_add_f64 v[29:30], v[6:7], v[2:3]
	v_add_f64 v[31:32], v[0:1], -v[4:5]
	v_add_f64 v[0:1], v[2:3], -v[6:7]
	s_waitcnt vmcnt(3)
	v_fma_f64 v[2:3], v[31:32], v[13:14], v[8:9]
	v_fma_f64 v[4:5], v[29:30], v[13:14], v[0:1]
	v_fma_f64 v[6:7], -v[31:32], v[13:14], v[8:9]
	v_fma_f64 v[8:9], v[29:30], v[13:14], -v[0:1]
	v_fma_f64 v[0:1], -v[29:30], v[11:12], v[2:3]
	v_fma_f64 v[2:3], v[31:32], v[11:12], v[4:5]
	v_fma_f64 v[4:5], v[29:30], v[11:12], v[6:7]
	v_fma_f64 v[6:7], v[31:32], v[11:12], v[8:9]
	ds_write_b128 v186, v[0:3] offset:512
	ds_write_b128 v10, v[4:7] offset:7168
	ds_read_b128 v[0:3], v186 offset:768
	ds_read_b128 v[4:7], v10 offset:6912
	global_load_dwordx4 v[11:14], v[27:28], off offset:1536
	;; [unrolled: 19-line block ×3, first 2 shown]
	s_waitcnt lgkmcnt(0)
	v_add_f64 v[8:9], v[0:1], v[4:5]
	v_add_f64 v[27:28], v[6:7], v[2:3]
	v_add_f64 v[29:30], v[0:1], -v[4:5]
	v_add_f64 v[0:1], v[2:3], -v[6:7]
	s_waitcnt vmcnt(3)
	v_fma_f64 v[2:3], v[29:30], v[25:26], v[8:9]
	v_fma_f64 v[4:5], v[27:28], v[25:26], v[0:1]
	v_fma_f64 v[6:7], -v[29:30], v[25:26], v[8:9]
	v_fma_f64 v[8:9], v[27:28], v[25:26], -v[0:1]
	v_fma_f64 v[0:1], -v[27:28], v[23:24], v[2:3]
	v_fma_f64 v[2:3], v[29:30], v[23:24], v[4:5]
	v_fma_f64 v[4:5], v[27:28], v[23:24], v[6:7]
	v_fma_f64 v[6:7], v[29:30], v[23:24], v[8:9]
	v_lshlrev_b64 v[8:9], 4, v[134:135]
	v_or_b32_e32 v134, 0x90, v128
	ds_write_b128 v186, v[0:3] offset:1024
	ds_write_b128 v10, v[4:7] offset:6656
	v_add_co_u32 v8, s0, s1, v8
	v_add_co_ci_u32_e64 v9, s0, s4, v9, s0
	ds_read_b128 v[0:3], v186 offset:1280
	ds_read_b128 v[4:7], v10 offset:6400
	global_load_dwordx4 v[23:26], v[8:9], off
	s_waitcnt lgkmcnt(0)
	v_add_f64 v[8:9], v[0:1], v[4:5]
	v_add_f64 v[27:28], v[6:7], v[2:3]
	v_add_f64 v[29:30], v[0:1], -v[4:5]
	v_add_f64 v[0:1], v[2:3], -v[6:7]
	s_waitcnt vmcnt(3)
	v_fma_f64 v[2:3], v[29:30], v[21:22], v[8:9]
	v_fma_f64 v[4:5], v[27:28], v[21:22], v[0:1]
	v_fma_f64 v[6:7], -v[29:30], v[21:22], v[8:9]
	v_fma_f64 v[8:9], v[27:28], v[21:22], -v[0:1]
	v_fma_f64 v[0:1], -v[27:28], v[19:20], v[2:3]
	v_fma_f64 v[2:3], v[29:30], v[19:20], v[4:5]
	v_fma_f64 v[4:5], v[27:28], v[19:20], v[6:7]
	v_fma_f64 v[6:7], v[29:30], v[19:20], v[8:9]
	v_lshlrev_b64 v[8:9], 4, v[134:135]
	v_or_b32_e32 v134, 0xa0, v128
	ds_write_b128 v186, v[0:3] offset:1280
	ds_write_b128 v10, v[4:7] offset:6400
	v_add_co_u32 v8, s0, s1, v8
	v_add_co_ci_u32_e64 v9, s0, s4, v9, s0
	ds_read_b128 v[0:3], v186 offset:1536
	ds_read_b128 v[4:7], v10 offset:6144
	global_load_dwordx4 v[19:22], v[8:9], off
	;; [unrolled: 23-line block ×3, first 2 shown]
	s_waitcnt lgkmcnt(0)
	v_add_f64 v[8:9], v[0:1], v[4:5]
	v_add_f64 v[27:28], v[6:7], v[2:3]
	v_add_f64 v[29:30], v[0:1], -v[4:5]
	v_add_f64 v[0:1], v[2:3], -v[6:7]
	s_waitcnt vmcnt(3)
	v_fma_f64 v[2:3], v[29:30], v[17:18], v[8:9]
	v_fma_f64 v[4:5], v[27:28], v[17:18], v[0:1]
	v_fma_f64 v[6:7], -v[29:30], v[17:18], v[8:9]
	v_fma_f64 v[8:9], v[27:28], v[17:18], -v[0:1]
	v_fma_f64 v[0:1], -v[27:28], v[15:16], v[2:3]
	v_fma_f64 v[2:3], v[29:30], v[15:16], v[4:5]
	v_fma_f64 v[4:5], v[27:28], v[15:16], v[6:7]
	v_fma_f64 v[6:7], v[29:30], v[15:16], v[8:9]
	v_lshlrev_b64 v[8:9], 4, v[134:135]
	ds_write_b128 v186, v[0:3] offset:1792
	ds_write_b128 v10, v[4:7] offset:5888
	v_add_co_u32 v8, s0, s1, v8
	v_add_co_ci_u32_e64 v9, s0, s4, v9, s0
	ds_read_b128 v[0:3], v186 offset:2048
	ds_read_b128 v[4:7], v10 offset:5632
	v_or_b32_e32 v134, 0xc0, v128
	global_load_dwordx4 v[15:18], v[8:9], off
	s_waitcnt lgkmcnt(0)
	v_add_f64 v[8:9], v[0:1], v[4:5]
	v_add_f64 v[27:28], v[6:7], v[2:3]
	v_add_f64 v[29:30], v[0:1], -v[4:5]
	v_add_f64 v[0:1], v[2:3], -v[6:7]
	s_waitcnt vmcnt(3)
	v_fma_f64 v[2:3], v[29:30], v[25:26], v[8:9]
	v_fma_f64 v[4:5], v[27:28], v[25:26], v[0:1]
	v_fma_f64 v[6:7], -v[29:30], v[25:26], v[8:9]
	v_fma_f64 v[8:9], v[27:28], v[25:26], -v[0:1]
	v_fma_f64 v[0:1], -v[27:28], v[23:24], v[2:3]
	v_fma_f64 v[2:3], v[29:30], v[23:24], v[4:5]
	v_fma_f64 v[4:5], v[27:28], v[23:24], v[6:7]
	v_fma_f64 v[6:7], v[29:30], v[23:24], v[8:9]
	v_lshlrev_b64 v[8:9], 4, v[134:135]
	ds_write_b128 v186, v[0:3] offset:2048
	ds_write_b128 v10, v[4:7] offset:5632
	v_add_co_u32 v8, s0, s1, v8
	v_add_co_ci_u32_e64 v9, s0, s4, v9, s0
	ds_read_b128 v[0:3], v186 offset:2304
	ds_read_b128 v[4:7], v10 offset:5376
	v_or_b32_e32 v134, 0xd0, v128
	global_load_dwordx4 v[23:26], v[8:9], off
	;; [unrolled: 23-line block ×3, first 2 shown]
	s_waitcnt lgkmcnt(0)
	v_add_f64 v[8:9], v[0:1], v[4:5]
	v_add_f64 v[27:28], v[6:7], v[2:3]
	v_add_f64 v[29:30], v[0:1], -v[4:5]
	v_add_f64 v[0:1], v[2:3], -v[6:7]
	s_waitcnt vmcnt(3)
	v_fma_f64 v[2:3], v[29:30], v[13:14], v[8:9]
	v_fma_f64 v[4:5], v[27:28], v[13:14], v[0:1]
	v_fma_f64 v[6:7], -v[29:30], v[13:14], v[8:9]
	v_fma_f64 v[8:9], v[27:28], v[13:14], -v[0:1]
	v_fma_f64 v[0:1], -v[27:28], v[11:12], v[2:3]
	v_fma_f64 v[2:3], v[29:30], v[11:12], v[4:5]
	v_fma_f64 v[4:5], v[27:28], v[11:12], v[6:7]
	;; [unrolled: 1-line block ×3, first 2 shown]
	v_lshlrev_b64 v[8:9], 4, v[134:135]
	ds_write_b128 v186, v[0:3] offset:2560
	ds_write_b128 v10, v[4:7] offset:5120
	v_add_co_u32 v8, s0, s1, v8
	v_add_co_ci_u32_e64 v9, s0, s4, v9, s0
	ds_read_b128 v[0:3], v186 offset:2816
	ds_read_b128 v[4:7], v10 offset:4864
	s_mov_b32 s1, 0x3fee6f0e
	s_mov_b32 s0, s6
	global_load_dwordx4 v[11:14], v[8:9], off
	s_mov_b32 s4, s8
	s_waitcnt lgkmcnt(0)
	v_add_f64 v[8:9], v[0:1], v[4:5]
	v_add_f64 v[27:28], v[6:7], v[2:3]
	v_add_f64 v[29:30], v[0:1], -v[4:5]
	v_add_f64 v[0:1], v[2:3], -v[6:7]
	s_waitcnt vmcnt(3)
	v_fma_f64 v[2:3], v[29:30], v[17:18], v[8:9]
	v_fma_f64 v[4:5], v[27:28], v[17:18], v[0:1]
	v_fma_f64 v[6:7], -v[29:30], v[17:18], v[8:9]
	v_fma_f64 v[8:9], v[27:28], v[17:18], -v[0:1]
	v_fma_f64 v[0:1], -v[27:28], v[15:16], v[2:3]
	v_fma_f64 v[2:3], v[29:30], v[15:16], v[4:5]
	v_fma_f64 v[4:5], v[27:28], v[15:16], v[6:7]
	v_fma_f64 v[6:7], v[29:30], v[15:16], v[8:9]
	ds_write_b128 v186, v[0:3] offset:2816
	ds_write_b128 v10, v[4:7] offset:4864
	ds_read_b128 v[0:3], v186 offset:3072
	ds_read_b128 v[4:7], v10 offset:4608
	s_waitcnt lgkmcnt(0)
	v_add_f64 v[8:9], v[0:1], v[4:5]
	v_add_f64 v[15:16], v[6:7], v[2:3]
	v_add_f64 v[17:18], v[0:1], -v[4:5]
	v_add_f64 v[0:1], v[2:3], -v[6:7]
	s_waitcnt vmcnt(2)
	v_fma_f64 v[2:3], v[17:18], v[25:26], v[8:9]
	v_fma_f64 v[4:5], v[15:16], v[25:26], v[0:1]
	v_fma_f64 v[6:7], -v[17:18], v[25:26], v[8:9]
	v_fma_f64 v[8:9], v[15:16], v[25:26], -v[0:1]
	v_fma_f64 v[0:1], -v[15:16], v[23:24], v[2:3]
	v_fma_f64 v[2:3], v[17:18], v[23:24], v[4:5]
	v_fma_f64 v[4:5], v[15:16], v[23:24], v[6:7]
	v_fma_f64 v[6:7], v[17:18], v[23:24], v[8:9]
	ds_write_b128 v186, v[0:3] offset:3072
	ds_write_b128 v10, v[4:7] offset:4608
	ds_read_b128 v[0:3], v186 offset:3328
	ds_read_b128 v[4:7], v10 offset:4352
	;; [unrolled: 18-line block ×3, first 2 shown]
	s_waitcnt lgkmcnt(0)
	v_add_f64 v[8:9], v[0:1], v[4:5]
	v_add_f64 v[15:16], v[6:7], v[2:3]
	v_add_f64 v[17:18], v[0:1], -v[4:5]
	v_add_f64 v[0:1], v[2:3], -v[6:7]
	s_waitcnt vmcnt(0)
	v_fma_f64 v[2:3], v[17:18], v[13:14], v[8:9]
	v_fma_f64 v[4:5], v[15:16], v[13:14], v[0:1]
	v_fma_f64 v[6:7], -v[17:18], v[13:14], v[8:9]
	v_fma_f64 v[8:9], v[15:16], v[13:14], -v[0:1]
	v_fma_f64 v[0:1], -v[15:16], v[11:12], v[2:3]
	v_fma_f64 v[2:3], v[17:18], v[11:12], v[4:5]
	v_fma_f64 v[4:5], v[15:16], v[11:12], v[6:7]
	v_fma_f64 v[6:7], v[17:18], v[11:12], v[8:9]
	v_lshl_add_u32 v8, v128, 4, 0
	ds_write_b128 v186, v[0:3] offset:3584
	ds_write_b128 v10, v[4:7] offset:4096
	v_add_nc_u32_e32 v129, v8, v255
	s_waitcnt lgkmcnt(0)
	s_barrier
	buffer_gl0_inv
	s_barrier
	buffer_gl0_inv
	ds_read_b128 v[0:3], v129 offset:3072
	ds_read_b128 v[4:7], v129 offset:4608
	;; [unrolled: 1-line block ×4, first 2 shown]
	ds_read_b128 v[16:19], v186
	ds_read_b128 v[20:23], v129 offset:1792
	ds_read_b128 v[24:27], v129 offset:3328
	;; [unrolled: 1-line block ×17, first 2 shown]
	s_waitcnt lgkmcnt(20)
	v_add_f64 v[90:91], v[0:1], v[4:5]
	s_waitcnt lgkmcnt(18)
	v_add_f64 v[92:93], v[12:13], v[8:9]
	;; [unrolled: 2-line block ×3, first 2 shown]
	v_add_f64 v[96:97], v[2:3], v[6:7]
	v_add_f64 v[98:99], v[14:15], v[10:11]
	v_add_f64 v[180:181], v[12:13], -v[0:1]
	v_add_f64 v[182:183], v[0:1], -v[12:13]
	;; [unrolled: 1-line block ×3, first 2 shown]
	v_add_f64 v[102:103], v[18:19], v[14:15]
	v_add_f64 v[80:81], v[14:15], -v[10:11]
	v_add_f64 v[78:79], v[12:13], -v[8:9]
	;; [unrolled: 1-line block ×4, first 2 shown]
	s_waitcnt lgkmcnt(10)
	v_add_f64 v[12:13], v[44:45], v[40:41]
	s_waitcnt lgkmcnt(5)
	v_add_f64 v[14:15], v[64:65], v[60:61]
	v_add_f64 v[118:119], v[20:21], v[32:33]
	;; [unrolled: 1-line block ×4, first 2 shown]
	v_add_f64 v[215:216], v[20:21], -v[24:25]
	v_add_f64 v[217:218], v[24:25], -v[20:21]
	v_add_f64 v[84:85], v[20:21], -v[32:33]
	v_add_f64 v[20:21], v[26:27], v[30:31]
	v_fma_f64 v[138:139], v[90:91], -0.5, v[16:17]
	v_fma_f64 v[150:151], v[92:93], -0.5, v[16:17]
	v_add_f64 v[0:1], v[100:101], v[0:1]
	v_fma_f64 v[122:123], v[96:97], -0.5, v[18:19]
	v_fma_f64 v[136:137], v[98:99], -0.5, v[18:19]
	s_waitcnt lgkmcnt(3)
	v_add_f64 v[16:17], v[108:109], v[68:69]
	v_add_f64 v[18:19], v[110:111], v[70:71]
	v_add_f64 v[74:75], v[2:3], -v[6:7]
	v_add_f64 v[2:3], v[102:103], v[2:3]
	v_add_f64 v[104:105], v[46:47], v[42:43]
	;; [unrolled: 1-line block ×5, first 2 shown]
	v_add_f64 v[82:83], v[66:67], -v[62:63]
	v_add_f64 v[201:202], v[64:65], -v[44:45]
	;; [unrolled: 1-line block ×6, first 2 shown]
	v_add_f64 v[66:67], v[24:25], v[28:29]
	v_add_f64 v[124:125], v[22:23], v[34:35]
	v_add_f64 v[86:87], v[22:23], -v[34:35]
	v_add_f64 v[219:220], v[22:23], -v[26:27]
	;; [unrolled: 1-line block ×3, first 2 shown]
	v_add_f64 v[0:1], v[0:1], v[4:5]
	s_waitcnt lgkmcnt(1)
	v_add_f64 v[22:23], v[144:145], v[152:153]
	v_fma_f64 v[114:115], v[12:13], -0.5, v[56:57]
	v_fma_f64 v[120:121], v[14:15], -0.5, v[56:57]
	s_waitcnt lgkmcnt(0)
	v_add_f64 v[12:13], v[68:69], v[156:157]
	v_add_f64 v[14:15], v[70:71], v[158:159]
	v_add_f64 v[90:91], v[24:25], -v[28:29]
	v_fma_f64 v[98:99], v[20:21], -0.5, v[38:39]
	v_add_f64 v[20:21], v[126:127], v[24:25]
	v_add_f64 v[24:25], v[148:149], v[26:27]
	;; [unrolled: 1-line block ×5, first 2 shown]
	v_add_f64 v[76:77], v[46:47], -v[42:43]
	v_add_f64 v[88:89], v[44:45], -v[40:41]
	v_fma_f64 v[140:141], v[104:105], -0.5, v[58:59]
	v_add_f64 v[44:45], v[112:113], v[44:45]
	v_add_f64 v[46:47], v[116:117], v[46:47]
	v_add_f64 v[92:93], v[26:27], -v[30:31]
	v_fma_f64 v[104:105], v[124:125], -0.5, v[38:39]
	v_add_f64 v[227:228], v[34:35], -v[30:31]
	v_add_f64 v[237:238], v[30:31], -v[34:35]
	v_add_f64 v[0:1], v[0:1], v[8:9]
	v_fma_f64 v[100:101], v[22:23], -0.5, v[108:109]
	v_add_f64 v[193:194], v[8:9], -v[4:5]
	v_add_f64 v[195:196], v[4:5], -v[8:9]
	v_fma_f64 v[108:109], v[12:13], -0.5, v[108:109]
	v_fma_f64 v[124:125], v[14:15], -0.5, v[110:111]
	v_add_f64 v[197:198], v[10:11], -v[6:7]
	v_add_f64 v[199:200], v[6:7], -v[10:11]
	v_add_f64 v[12:13], v[20:21], v[28:29]
	v_add_f64 v[14:15], v[24:25], v[30:31]
	v_add_f64 v[20:21], v[16:17], v[152:153]
	v_add_f64 v[30:31], v[18:19], v[154:155]
	ds_read_b128 v[16:19], v129 offset:2048
	buffer_store_dword v0, off, s[28:31], 0 offset:4 ; 4-byte Folded Spill
	buffer_store_dword v1, off, s[28:31], 0 offset:8 ; 4-byte Folded Spill
	v_add_f64 v[0:1], v[2:3], v[10:11]
	v_add_f64 v[4:5], v[44:45], v[40:41]
	;; [unrolled: 1-line block ×3, first 2 shown]
	buffer_store_dword v0, off, s[28:31], 0 offset:12 ; 4-byte Folded Spill
	buffer_store_dword v1, off, s[28:31], 0 offset:16 ; 4-byte Folded Spill
	ds_read_b128 v[22:25], v129 offset:6656
	v_add_f64 v[102:103], v[146:147], v[154:155]
	v_add_f64 v[223:224], v[32:33], -v[28:29]
	v_add_f64 v[225:226], v[28:29], -v[32:33]
	ds_read_b128 v[26:29], v129 offset:512
	v_add_f64 v[8:9], v[4:5], v[60:61]
	v_add_f64 v[10:11], v[6:7], v[62:63]
	;; [unrolled: 1-line block ×7, first 2 shown]
	v_fma_f64 v[116:117], v[118:119], -0.5, v[36:37]
	v_add_f64 v[229:230], v[68:69], -v[144:145]
	v_add_f64 v[231:232], v[144:145], -v[68:69]
	;; [unrolled: 1-line block ×4, first 2 shown]
	v_add_f64 v[14:15], v[30:31], v[158:159]
	v_add_f64 v[96:97], v[146:147], -v[154:155]
	v_add_f64 v[233:234], v[70:71], -v[146:147]
	s_waitcnt lgkmcnt(1)
	v_add_f64 v[34:35], v[16:17], v[22:23]
	v_add_f64 v[30:31], v[18:19], v[24:25]
	v_add_f64 v[235:236], v[146:147], -v[70:71]
	v_fma_f64 v[118:119], v[102:103], -0.5, v[110:111]
	v_add_f64 v[102:103], v[144:145], -v[152:153]
	v_add_f64 v[110:111], v[70:71], -v[158:159]
	;; [unrolled: 1-line block ×7, first 2 shown]
	s_waitcnt lgkmcnt(0)
	v_fma_f64 v[148:149], v[32:33], -0.5, v[26:27]
	v_add_f64 v[253:254], v[50:51], -v[18:19]
	v_fma_f64 v[144:145], v[20:21], -0.5, v[28:29]
	v_add_f64 v[20:21], v[26:27], v[16:17]
	v_add_f64 v[158:159], v[18:19], -v[24:25]
	v_add_f64 v[154:155], v[16:17], -v[22:23]
	;; [unrolled: 1-line block ×7, first 2 shown]
	v_fma_f64 v[152:153], v[34:35], -0.5, v[26:27]
	v_add_f64 v[26:27], v[28:29], v[18:19]
	v_fma_f64 v[146:147], v[30:31], -0.5, v[28:29]
	v_add_f64 v[209:210], v[40:41], -v[60:61]
	v_fma_f64 v[142:143], v[106:107], -0.5, v[58:59]
	v_fma_f64 v[106:107], v[66:67], -0.5, v[36:37]
	v_add_f64 v[126:127], v[68:69], -v[156:157]
	v_add_f64 v[211:212], v[62:63], -v[42:43]
	v_add_f64 v[213:214], v[42:43], -v[62:63]
	v_add_f64 v[193:194], v[180:181], v[193:194]
	v_fma_f64 v[180:181], v[82:83], s[0:1], v[114:115]
	v_add_f64 v[112:113], v[50:51], -v[54:55]
	v_add_f64 v[44:45], v[189:190], v[197:198]
	v_fma_f64 v[189:190], v[110:111], s[0:1], v[100:101]
	v_add_f64 v[28:29], v[20:21], v[48:49]
	v_add_f64 v[20:21], v[48:49], -v[52:53]
	v_add_f64 v[60:61], v[182:183], v[195:196]
	v_add_f64 v[62:63], v[191:192], v[199:200]
	;; [unrolled: 1-line block ×16, first 2 shown]
	ds_read_b128 v[22:25], v129 offset:4352
	ds_read_b128 v[26:29], v129 offset:5888
	;; [unrolled: 1-line block ×3, first 2 shown]
	s_waitcnt lgkmcnt(1)
	v_add_f64 v[34:35], v[22:23], v[26:27]
	v_add_f64 v[66:67], v[24:25], -v[28:29]
	v_add_f64 v[164:165], v[22:23], -v[26:27]
	s_waitcnt lgkmcnt(0)
	v_fma_f64 v[156:157], v[34:35], -0.5, v[30:31]
	ds_read_b128 v[34:37], v129 offset:2816
	ds_read_b128 v[38:41], v129 offset:7424
	s_waitcnt lgkmcnt(0)
	s_waitcnt_vscnt null, 0x0
	s_barrier
	buffer_gl0_inv
	v_add_f64 v[174:175], v[22:23], -v[34:35]
	v_add_f64 v[42:43], v[34:35], v[38:39]
	v_add_f64 v[172:173], v[24:25], -v[36:37]
	v_add_f64 v[168:169], v[36:37], -v[40:41]
	;; [unrolled: 1-line block ×5, first 2 shown]
	v_fma_f64 v[160:161], v[42:43], -0.5, v[30:31]
	v_add_f64 v[42:43], v[24:25], v[28:29]
	v_add_f64 v[30:31], v[30:31], v[34:35]
	;; [unrolled: 1-line block ×3, first 2 shown]
	v_fma_f64 v[178:179], v[82:83], s[6:7], v[114:115]
	v_fma_f64 v[162:163], v[42:43], -0.5, v[32:33]
	v_add_f64 v[42:43], v[36:37], v[40:41]
	v_add_f64 v[30:31], v[30:31], v[22:23]
	v_fma_f64 v[166:167], v[42:43], -0.5, v[32:33]
	v_add_f64 v[32:33], v[32:33], v[36:37]
	v_add_f64 v[42:43], v[34:35], -v[22:23]
	v_add_f64 v[22:23], v[36:37], -v[24:25]
	;; [unrolled: 1-line block ×3, first 2 shown]
	v_add_f64 v[34:35], v[229:230], v[239:240]
	v_add_f64 v[32:33], v[32:33], v[24:25]
	;; [unrolled: 1-line block ×3, first 2 shown]
	v_add_f64 v[26:27], v[40:41], -v[28:29]
	v_add_f64 v[42:43], v[42:43], v[36:37]
	v_add_f64 v[36:37], v[249:250], v[187:188]
	v_fma_f64 v[187:188], v[84:85], s[6:7], v[98:99]
	v_add_f64 v[30:31], v[32:33], v[28:29]
	v_add_f64 v[68:69], v[24:25], v[38:39]
	;; [unrolled: 1-line block ×3, first 2 shown]
	v_fma_f64 v[0:1], v[74:75], s[0:1], v[150:151]
	v_add_f64 v[38:39], v[253:254], v[2:3]
	v_fma_f64 v[2:3], v[74:75], s[6:7], v[150:151]
	v_add_f64 v[28:29], v[22:23], v[26:27]
	v_fma_f64 v[22:23], v[80:81], s[6:7], v[138:139]
	v_fma_f64 v[26:27], v[80:81], s[0:1], v[138:139]
	v_add_f64 v[150:151], v[172:173], v[176:177]
	v_fma_f64 v[172:173], v[78:79], s[0:1], v[122:123]
	v_fma_f64 v[176:177], v[78:79], s[6:7], v[122:123]
	v_add_f64 v[32:33], v[219:220], v[227:228]
	v_add_f64 v[70:71], v[30:31], v[40:41]
	;; [unrolled: 1-line block ×4, first 2 shown]
	v_fma_f64 v[138:139], v[80:81], s[8:9], v[0:1]
	v_fma_f64 v[0:1], v[72:73], s[6:7], v[136:137]
	;; [unrolled: 1-line block ×97, first 2 shown]
	v_add_f64 v[164:165], v[4:5], v[12:13]
	v_add_f64 v[4:5], v[4:5], -v[12:13]
	v_add_f64 v[12:13], v[16:17], v[68:69]
	v_fma_f64 v[110:111], v[36:37], s[14:15], v[90:91]
	v_mul_f64 v[54:55], v[80:81], s[4:5]
	v_fma_f64 v[106:107], v[38:39], s[14:15], v[124:125]
	v_fma_f64 v[146:147], v[170:171], s[4:5], v[0:1]
	;; [unrolled: 1-line block ×12, first 2 shown]
	v_mul_u32_u24_e32 v0, 10, v128
	v_fma_f64 v[144:145], v[168:169], s[4:5], v[2:3]
	v_fma_f64 v[22:23], v[66:67], s[8:9], v[160:161]
	;; [unrolled: 1-line block ×3, first 2 shown]
	v_add_f64 v[166:167], v[6:7], v[14:15]
	v_lshlrev_b32_e32 v0, 4, v0
	v_add_f64 v[6:7], v[6:7], -v[14:15]
	v_add_f64 v[14:15], v[18:19], v[70:71]
	v_fma_f64 v[36:37], v[150:151], s[14:15], v[126:127]
	v_fma_f64 v[100:101], v[184:185], s[14:15], v[156:157]
	v_add3_u32 v134, 0, v0, v255
	s_clause 0x3
	buffer_load_dword v0, off, s[28:31], 0 offset:4
	buffer_load_dword v1, off, s[28:31], 0 offset:8
	;; [unrolled: 1-line block ×4, first 2 shown]
	v_fma_f64 v[112:113], v[184:185], s[14:15], v[112:113]
	v_fma_f64 v[34:35], v[174:175], s[14:15], v[154:155]
	;; [unrolled: 1-line block ×4, first 2 shown]
	v_mul_f64 v[124:125], v[36:37], s[6:7]
	v_mul_f64 v[36:37], v[36:37], s[20:21]
	v_fma_f64 v[124:125], v[38:39], s[20:21], v[124:125]
	s_waitcnt vmcnt(2)
	v_add_f64 v[160:161], v[0:1], v[8:9]
	s_waitcnt vmcnt(0)
	v_add_f64 v[162:163], v[2:3], v[10:11]
	v_add_f64 v[8:9], v[0:1], -v[8:9]
	v_add_f64 v[10:11], v[2:3], -v[10:11]
	v_add_f64 v[0:1], v[16:17], -v[68:69]
	v_add_f64 v[2:3], v[18:19], -v[70:71]
	v_fma_f64 v[16:17], v[56:57], s[14:15], v[142:143]
	v_fma_f64 v[18:19], v[46:47], s[14:15], v[176:177]
	;; [unrolled: 1-line block ×12, first 2 shown]
	ds_write_b128 v134, v[160:163]
	ds_write_b128 v134, v[8:11] offset:80
	ds_write_b128 v134, v[164:167] offset:2560
	;; [unrolled: 1-line block ×4, first 2 shown]
	v_mul_f64 v[8:9], v[136:137], s[6:7]
	v_mul_f64 v[10:11], v[136:137], s[14:15]
	;; [unrolled: 1-line block ×6, first 2 shown]
	v_fma_f64 v[116:117], v[24:25], s[14:15], v[20:21]
	v_fma_f64 v[20:21], v[42:43], s[14:15], v[66:67]
	v_mul_f64 v[24:25], v[56:57], s[8:9]
	v_mul_f64 v[42:43], v[56:57], s[16:17]
	;; [unrolled: 1-line block ×15, first 2 shown]
	v_fma_f64 v[68:69], v[193:194], s[14:15], v[140:141]
	v_fma_f64 v[8:9], v[120:121], s[14:15], v[8:9]
	;; [unrolled: 1-line block ×24, first 2 shown]
	v_add_f64 v[24:25], v[68:69], v[4:5]
	v_add_f64 v[26:27], v[70:71], v[6:7]
	;; [unrolled: 1-line block ×8, first 2 shown]
	v_add_f64 v[28:29], v[68:69], -v[4:5]
	v_add_f64 v[30:31], v[70:71], -v[6:7]
	;; [unrolled: 1-line block ×8, first 2 shown]
	v_add_f64 v[56:57], v[82:83], v[80:81]
	v_add_f64 v[58:59], v[88:89], v[120:121]
	;; [unrolled: 1-line block ×6, first 2 shown]
	v_add_f64 v[60:61], v[82:83], -v[80:81]
	v_add_f64 v[80:81], v[92:93], v[144:145]
	v_add_f64 v[82:83], v[98:99], v[146:147]
	v_add_f64 v[62:63], v[88:89], -v[120:121]
	v_add_f64 v[68:69], v[76:77], -v[136:137]
	;; [unrolled: 1-line block ×7, first 2 shown]
	v_add_f64 v[88:89], v[100:101], v[22:23]
	v_add_f64 v[90:91], v[102:103], v[94:95]
	v_add_f64 v[10:11], v[102:103], -v[94:95]
	v_add_f64 v[92:93], v[96:97], v[118:119]
	v_add_f64 v[94:95], v[106:107], v[148:149]
	v_add_f64 v[12:13], v[96:97], -v[118:119]
	v_add_f64 v[96:97], v[110:111], v[124:125]
	v_add_f64 v[98:99], v[114:115], v[150:151]
	;; [unrolled: 1-line block ×4, first 2 shown]
	v_add_f64 v[8:9], v[100:101], -v[22:23]
	v_add_f64 v[14:15], v[106:107], -v[148:149]
	ds_write_b128 v134, v[0:3] offset:5200
	v_add_f64 v[16:17], v[110:111], -v[124:125]
	v_add_f64 v[18:19], v[114:115], -v[150:151]
	;; [unrolled: 1-line block ×4, first 2 shown]
	ds_write_b128 v134, v[24:27] offset:16
	ds_write_b128 v134, v[32:35] offset:32
	;; [unrolled: 1-line block ×24, first 2 shown]
	s_waitcnt lgkmcnt(0)
	s_barrier
	buffer_gl0_inv
	ds_read_b128 v[40:43], v186
	ds_read_b128 v[36:39], v129 offset:256
	ds_read_b128 v[116:119], v129 offset:1920
	;; [unrolled: 1-line block ×23, first 2 shown]
	v_cmp_gt_u32_e64 s0, 12, v128
                                        ; implicit-def: $vgpr26_vgpr27
                                        ; implicit-def: $vgpr30_vgpr31
	s_and_saveexec_b32 s1, s0
	s_cbranch_execz .LBB0_21
; %bb.20:
	ds_read_b128 v[4:7], v129 offset:768
	ds_read_b128 v[0:3], v129 offset:1728
	;; [unrolled: 1-line block ×8, first 2 shown]
.LBB0_21:
	s_or_b32 exec_lo, exec_lo, s1
	v_add_nc_u32_e32 v134, -10, v128
	v_cmp_gt_u32_e64 s1, 10, v128
	s_mov_b32 s4, 0x667f3bcd
	s_mov_b32 s5, 0xbfe6a09e
	;; [unrolled: 1-line block ×4, first 2 shown]
	v_cndmask_b32_e64 v136, v134, v128, s1
	v_mul_i32_i24_e32 v134, 7, v136
	v_lshlrev_b64 v[134:135], 4, v[134:135]
	v_add_co_u32 v145, s1, s12, v134
	v_add_co_ci_u32_e64 v146, s1, s13, v135, s1
	v_cmp_lt_u32_e64 s1, 9, v128
	s_clause 0x1
	global_load_dwordx4 v[137:140], v[145:146], off
	global_load_dwordx4 v[141:144], v[145:146], off offset:16
	s_waitcnt vmcnt(1) lgkmcnt(15)
	v_mul_f64 v[134:135], v[126:127], v[139:140]
	v_fma_f64 v[134:135], v[124:125], v[137:138], v[134:135]
	v_mul_f64 v[124:125], v[124:125], v[139:140]
	v_fma_f64 v[124:125], v[126:127], v[137:138], -v[124:125]
	s_waitcnt vmcnt(0)
	v_mul_f64 v[126:127], v[118:119], v[143:144]
	v_fma_f64 v[126:127], v[116:117], v[141:142], v[126:127]
	v_mul_f64 v[116:117], v[116:117], v[143:144]
	v_fma_f64 v[116:117], v[118:119], v[141:142], -v[116:117]
	s_clause 0x1
	global_load_dwordx4 v[137:140], v[145:146], off offset:32
	global_load_dwordx4 v[141:144], v[145:146], off offset:48
	s_waitcnt vmcnt(1) lgkmcnt(11)
	v_mul_f64 v[118:119], v[122:123], v[139:140]
	v_fma_f64 v[118:119], v[120:121], v[137:138], v[118:119]
	v_mul_f64 v[120:121], v[120:121], v[139:140]
	v_fma_f64 v[120:121], v[122:123], v[137:138], -v[120:121]
	s_waitcnt vmcnt(0)
	v_mul_f64 v[122:123], v[110:111], v[143:144]
	v_fma_f64 v[122:123], v[108:109], v[141:142], v[122:123]
	v_mul_f64 v[108:109], v[108:109], v[143:144]
	v_fma_f64 v[108:109], v[110:111], v[141:142], -v[108:109]
	s_clause 0x1
	global_load_dwordx4 v[137:140], v[145:146], off offset:64
	global_load_dwordx4 v[141:144], v[145:146], off offset:80
	v_add_f64 v[108:109], v[42:43], -v[108:109]
	s_waitcnt vmcnt(1) lgkmcnt(7)
	v_mul_f64 v[110:111], v[114:115], v[139:140]
	v_fma_f64 v[110:111], v[112:113], v[137:138], v[110:111]
	v_mul_f64 v[112:113], v[112:113], v[139:140]
	v_fma_f64 v[112:113], v[114:115], v[137:138], -v[112:113]
	s_waitcnt vmcnt(0)
	v_mul_f64 v[114:115], v[106:107], v[143:144]
	v_add_f64 v[112:113], v[124:125], -v[112:113]
	v_fma_f64 v[114:115], v[104:105], v[141:142], v[114:115]
	v_mul_f64 v[104:105], v[104:105], v[143:144]
	v_fma_f64 v[124:125], v[124:125], 2.0, -v[112:113]
	v_add_f64 v[114:115], v[126:127], -v[114:115]
	v_fma_f64 v[104:105], v[106:107], v[141:142], -v[104:105]
	v_or_b32_e32 v107, 16, v128
	v_and_b32_e32 v106, 0xff, v107
	v_mul_lo_u16 v106, 0xcd, v106
	v_lshrrev_b16 v106, 11, v106
	v_mul_lo_u16 v137, v106, 10
	v_add_f64 v[104:105], v[116:117], -v[104:105]
	v_sub_nc_u16 v107, v107, v137
	v_mov_b32_e32 v137, 4
	v_mul_lo_u16 v138, v107, 7
	v_lshlrev_b32_sdwa v151, v137, v138 dst_sel:DWORD dst_unused:UNUSED_PAD src0_sel:DWORD src1_sel:BYTE_0
	s_clause 0x1
	global_load_dwordx4 v[138:141], v[145:146], off offset:96
	global_load_dwordx4 v[142:145], v151, s[12:13]
	s_waitcnt vmcnt(1) lgkmcnt(3)
	v_mul_f64 v[146:147], v[102:103], v[140:141]
	v_fma_f64 v[147:148], v[100:101], v[138:139], v[146:147]
	v_mul_f64 v[100:101], v[100:101], v[140:141]
	v_fma_f64 v[149:150], v[102:103], v[138:139], -v[100:101]
	s_waitcnt vmcnt(0)
	v_mul_f64 v[100:101], v[98:99], v[144:145]
	v_fma_f64 v[100:101], v[96:97], v[142:143], v[100:101]
	v_mul_f64 v[96:97], v[96:97], v[144:145]
	v_fma_f64 v[96:97], v[98:99], v[142:143], -v[96:97]
	s_clause 0x1
	global_load_dwordx4 v[138:141], v151, s[12:13] offset:16
	global_load_dwordx4 v[142:145], v151, s[12:13] offset:32
	s_waitcnt vmcnt(1)
	v_mul_f64 v[98:99], v[90:91], v[140:141]
	v_fma_f64 v[98:99], v[88:89], v[138:139], v[98:99]
	v_mul_f64 v[88:89], v[88:89], v[140:141]
	v_fma_f64 v[90:91], v[90:91], v[138:139], -v[88:89]
	s_waitcnt vmcnt(0)
	v_mul_f64 v[88:89], v[94:95], v[144:145]
	v_fma_f64 v[88:89], v[92:93], v[142:143], v[88:89]
	v_mul_f64 v[92:93], v[92:93], v[144:145]
	v_fma_f64 v[92:93], v[94:95], v[142:143], -v[92:93]
	s_clause 0x1
	global_load_dwordx4 v[138:141], v151, s[12:13] offset:48
	global_load_dwordx4 v[142:145], v151, s[12:13] offset:64
	s_waitcnt vmcnt(1)
	v_mul_f64 v[94:95], v[82:83], v[140:141]
	v_fma_f64 v[94:95], v[80:81], v[138:139], v[94:95]
	v_mul_f64 v[80:81], v[80:81], v[140:141]
	v_fma_f64 v[102:103], v[82:83], v[138:139], -v[80:81]
	s_waitcnt vmcnt(0)
	v_mul_f64 v[80:81], v[86:87], v[144:145]
	v_mul_f64 v[82:83], v[84:85], v[144:145]
	v_fma_f64 v[80:81], v[84:85], v[142:143], v[80:81]
	v_fma_f64 v[82:83], v[86:87], v[142:143], -v[82:83]
	s_clause 0x1
	global_load_dwordx4 v[138:141], v151, s[12:13] offset:80
	global_load_dwordx4 v[142:145], v151, s[12:13] offset:96
	v_mov_b32_e32 v86, 7
	v_add_f64 v[80:81], v[100:101], -v[80:81]
	v_add_f64 v[82:83], v[96:97], -v[82:83]
	s_waitcnt vmcnt(1)
	v_mul_f64 v[84:85], v[74:75], v[140:141]
	v_fma_f64 v[84:85], v[72:73], v[138:139], v[84:85]
	v_mul_f64 v[72:73], v[72:73], v[140:141]
	v_add_f64 v[84:85], v[98:99], -v[84:85]
	v_fma_f64 v[74:75], v[74:75], v[138:139], -v[72:73]
	s_waitcnt vmcnt(0) lgkmcnt(1)
	v_mul_f64 v[72:73], v[78:79], v[144:145]
	v_add_f64 v[74:75], v[90:91], -v[74:75]
	v_fma_f64 v[72:73], v[76:77], v[142:143], v[72:73]
	v_mul_f64 v[76:77], v[76:77], v[144:145]
	v_add_f64 v[72:73], v[88:89], -v[72:73]
	v_fma_f64 v[76:77], v[78:79], v[142:143], -v[76:77]
	v_or_b32_e32 v78, 32, v128
	v_and_b32_e32 v79, 0xff, v78
	v_mul_lo_u16 v79, 0xcd, v79
	v_lshrrev_b16 v87, 11, v79
	v_mul_lo_u16 v79, v87, 10
	v_add_f64 v[76:77], v[92:93], -v[76:77]
	v_sub_nc_u16 v138, v78, v79
	v_mul_u32_u24_sdwa v78, v138, v86 dst_sel:DWORD dst_unused:UNUSED_PAD src0_sel:BYTE_0 src1_sel:DWORD
	v_lshlrev_b32_e32 v151, 4, v78
	s_clause 0x1
	global_load_dwordx4 v[139:142], v151, s[12:13]
	global_load_dwordx4 v[143:146], v151, s[12:13] offset:16
	s_waitcnt vmcnt(1)
	v_mul_f64 v[78:79], v[70:71], v[141:142]
	v_fma_f64 v[78:79], v[68:69], v[139:140], v[78:79]
	v_mul_f64 v[68:69], v[68:69], v[141:142]
	v_fma_f64 v[70:71], v[70:71], v[139:140], -v[68:69]
	s_waitcnt vmcnt(0)
	v_mul_f64 v[68:69], v[66:67], v[145:146]
	v_fma_f64 v[68:69], v[64:65], v[143:144], v[68:69]
	v_mul_f64 v[64:65], v[64:65], v[145:146]
	v_fma_f64 v[64:65], v[66:67], v[143:144], -v[64:65]
	s_clause 0x1
	global_load_dwordx4 v[139:142], v151, s[12:13] offset:32
	global_load_dwordx4 v[143:146], v151, s[12:13] offset:48
	s_waitcnt vmcnt(1)
	v_mul_f64 v[66:67], v[62:63], v[141:142]
	v_fma_f64 v[66:67], v[60:61], v[139:140], v[66:67]
	v_mul_f64 v[60:61], v[60:61], v[141:142]
	v_fma_f64 v[60:61], v[62:63], v[139:140], -v[60:61]
	s_waitcnt vmcnt(0)
	v_mul_f64 v[62:63], v[58:59], v[145:146]
	v_fma_f64 v[62:63], v[56:57], v[143:144], v[62:63]
	v_mul_f64 v[56:57], v[56:57], v[145:146]
	v_add_f64 v[62:63], v[32:33], -v[62:63]
	v_fma_f64 v[56:57], v[58:59], v[143:144], -v[56:57]
	s_clause 0x1
	global_load_dwordx4 v[139:142], v151, s[12:13] offset:64
	global_load_dwordx4 v[143:146], v151, s[12:13] offset:80
	v_add_f64 v[56:57], v[34:35], -v[56:57]
	s_waitcnt vmcnt(1)
	v_mul_f64 v[58:59], v[54:55], v[141:142]
	v_fma_f64 v[58:59], v[52:53], v[139:140], v[58:59]
	v_mul_f64 v[52:53], v[52:53], v[141:142]
	v_fma_f64 v[52:53], v[54:55], v[139:140], -v[52:53]
	global_load_dwordx4 v[139:142], v151, s[12:13] offset:96
	s_waitcnt vmcnt(1)
	v_mul_f64 v[54:55], v[50:51], v[145:146]
	s_waitcnt vmcnt(0) lgkmcnt(0)
	s_barrier
	buffer_gl0_inv
	v_fma_f64 v[54:55], v[48:49], v[143:144], v[54:55]
	v_mul_f64 v[48:49], v[48:49], v[145:146]
	v_add_f64 v[145:146], v[118:119], -v[147:148]
	v_fma_f64 v[50:51], v[50:51], v[143:144], -v[48:49]
	v_add_f64 v[143:144], v[120:121], -v[149:150]
	v_add_f64 v[149:150], v[108:109], -v[114:115]
	;; [unrolled: 1-line block ×3, first 2 shown]
	v_fma_f64 v[114:115], v[126:127], 2.0, -v[114:115]
	v_fma_f64 v[153:154], v[108:109], 2.0, -v[149:150]
	v_mul_f64 v[48:49], v[46:47], v[141:142]
	v_fma_f64 v[48:49], v[44:45], v[139:140], v[48:49]
	v_mul_f64 v[44:45], v[44:45], v[141:142]
	v_add_f64 v[141:142], v[134:135], -v[110:111]
	v_fma_f64 v[44:45], v[46:47], v[139:140], -v[44:45]
	v_add_f64 v[46:47], v[40:41], -v[122:123]
	v_fma_f64 v[139:140], v[42:43], 2.0, -v[108:109]
	v_add_f64 v[110:111], v[141:142], v[143:144]
	v_fma_f64 v[42:43], v[151:152], s[6:7], v[149:150]
	v_fma_f64 v[108:109], v[112:113], 2.0, -v[151:152]
	v_fma_f64 v[126:127], v[134:135], 2.0, -v[141:142]
	;; [unrolled: 1-line block ×4, first 2 shown]
	v_add_f64 v[147:148], v[46:47], v[104:105]
	v_fma_f64 v[104:105], v[116:117], 2.0, -v[104:105]
	v_fma_f64 v[116:117], v[118:119], 2.0, -v[145:146]
	v_fma_f64 v[42:43], v[110:111], s[4:5], v[42:43]
	v_cndmask_b32_e64 v118, 0, 0x50, s1
	v_add_f64 v[134:135], v[124:125], -v[112:113]
	v_fma_f64 v[155:156], v[108:109], s[4:5], v[153:154]
	v_or_b32_e32 v118, v118, v136
	v_add_f64 v[120:121], v[122:123], -v[114:115]
	v_fma_f64 v[40:41], v[110:111], s[6:7], v[147:148]
	v_fma_f64 v[110:111], v[141:142], 2.0, -v[110:111]
	v_add_f64 v[104:105], v[139:140], -v[104:105]
	v_add_f64 v[141:142], v[126:127], -v[116:117]
	v_lshlrev_b32_e32 v116, 4, v118
	v_fma_f64 v[46:47], v[46:47], 2.0, -v[147:148]
	v_add3_u32 v136, 0, v116, v255
	v_add_f64 v[112:113], v[120:121], v[134:135]
	v_fma_f64 v[40:41], v[151:152], s[6:7], v[40:41]
	v_add_f64 v[114:115], v[104:105], -v[141:142]
	v_fma_f64 v[151:152], v[110:111], s[4:5], v[46:47]
	v_fma_f64 v[110:111], v[110:111], s[4:5], v[155:156]
	v_fma_f64 v[116:117], v[120:121], 2.0, -v[112:113]
	v_fma_f64 v[118:119], v[104:105], 2.0, -v[114:115]
	ds_write_b128 v136, v[112:115] offset:960
	v_fma_f64 v[112:113], v[147:148], 2.0, -v[40:41]
	v_fma_f64 v[114:115], v[149:150], 2.0, -v[42:43]
	ds_write_b128 v136, v[40:43] offset:1120
	ds_write_b128 v136, v[116:119] offset:320
	ds_write_b128 v136, v[112:115] offset:480
	v_fma_f64 v[112:113], v[122:123], 2.0, -v[120:121]
	v_fma_f64 v[104:105], v[139:140], 2.0, -v[104:105]
	;; [unrolled: 1-line block ×4, first 2 shown]
	v_fma_f64 v[108:109], v[108:109], s[6:7], v[151:152]
	v_add_f64 v[118:119], v[68:69], -v[54:55]
	v_add_f64 v[120:121], v[64:65], -v[50:51]
	;; [unrolled: 1-line block ×6, first 2 shown]
	v_fma_f64 v[116:117], v[34:35], 2.0, -v[56:57]
	v_fma_f64 v[58:59], v[96:97], 2.0, -v[82:83]
	;; [unrolled: 1-line block ×4, first 2 shown]
	v_add_f64 v[40:41], v[112:113], -v[40:41]
	v_add_f64 v[42:43], v[104:105], -v[42:43]
	;; [unrolled: 1-line block ×3, first 2 shown]
	v_add_f64 v[139:140], v[62:63], v[120:121]
	v_fma_f64 v[64:65], v[64:65], 2.0, -v[120:121]
	v_fma_f64 v[60:61], v[60:61], 2.0, -v[126:127]
	v_add_f64 v[34:35], v[124:125], -v[134:135]
	v_fma_f64 v[112:113], v[112:113], 2.0, -v[40:41]
	v_fma_f64 v[114:115], v[104:105], 2.0, -v[42:43]
	ds_write_b128 v136, v[40:43] offset:640
	v_fma_f64 v[40:41], v[46:47], 2.0, -v[108:109]
	v_fma_f64 v[42:43], v[153:154], 2.0, -v[110:111]
	ds_write_b128 v136, v[108:111] offset:800
	ds_write_b128 v136, v[112:115]
	ds_write_b128 v136, v[40:43] offset:160
	v_add_f64 v[40:41], v[36:37], -v[94:95]
	v_add_f64 v[42:43], v[38:39], -v[102:103]
	v_add_f64 v[46:47], v[80:81], v[76:77]
	v_add_f64 v[110:111], v[82:83], -v[72:73]
	v_fma_f64 v[143:144], v[62:63], 2.0, -v[139:140]
	v_fma_f64 v[145:146], v[56:57], 2.0, -v[141:142]
	;; [unrolled: 1-line block ×3, first 2 shown]
	v_add_f64 v[104:105], v[40:41], v[74:75]
	v_add_f64 v[108:109], v[42:43], -v[84:85]
	v_fma_f64 v[94:95], v[36:37], 2.0, -v[40:41]
	v_fma_f64 v[102:103], v[38:39], 2.0, -v[42:43]
	v_add_f64 v[76:77], v[56:57], -v[54:55]
	v_fma_f64 v[36:37], v[46:47], s[6:7], v[104:105]
	v_fma_f64 v[112:113], v[40:41], 2.0, -v[104:105]
	v_fma_f64 v[114:115], v[42:43], 2.0, -v[108:109]
	;; [unrolled: 1-line block ×3, first 2 shown]
	v_fma_f64 v[38:39], v[110:111], s[6:7], v[108:109]
	v_fma_f64 v[42:43], v[80:81], 2.0, -v[46:47]
	v_fma_f64 v[36:37], v[110:111], s[6:7], v[36:37]
	v_fma_f64 v[110:111], v[40:41], s[4:5], v[114:115]
	;; [unrolled: 1-line block ×5, first 2 shown]
	v_fma_f64 v[110:111], v[32:33], 2.0, -v[62:63]
	v_add_f64 v[32:33], v[122:123], v[126:127]
	v_fma_f64 v[40:41], v[40:41], s[6:7], v[46:47]
	v_fma_f64 v[46:47], v[34:35], s[6:7], v[141:142]
	v_mul_lo_u16 v62, 0x50, v106
	v_or_b32_e32 v62, v62, v107
	v_lshlrev_b32_sdwa v80, v137, v62 dst_sel:DWORD dst_unused:UNUSED_PAD src0_sel:DWORD src1_sel:BYTE_0
	v_fma_f64 v[44:45], v[32:33], s[6:7], v[139:140]
	v_fma_f64 v[46:47], v[32:33], s[4:5], v[46:47]
	v_fma_f64 v[32:33], v[122:123], 2.0, -v[32:33]
	v_fma_f64 v[44:45], v[34:35], s[6:7], v[44:45]
	v_fma_f64 v[34:35], v[124:125], 2.0, -v[34:35]
	v_fma_f64 v[48:49], v[32:33], s[4:5], v[143:144]
	v_fma_f64 v[50:51], v[34:35], s[4:5], v[145:146]
	;; [unrolled: 1-line block ×3, first 2 shown]
	v_fma_f64 v[34:35], v[90:91], 2.0, -v[74:75]
	v_add_f64 v[74:75], v[58:59], -v[52:53]
	v_fma_f64 v[50:51], v[32:33], s[4:5], v[50:51]
	v_fma_f64 v[32:33], v[98:99], 2.0, -v[84:85]
	v_add3_u32 v84, 0, v80, v255
	v_add_f64 v[72:73], v[102:103], -v[34:35]
	v_fma_f64 v[88:89], v[143:144], 2.0, -v[48:49]
	v_fma_f64 v[90:91], v[145:146], 2.0, -v[50:51]
	v_add_f64 v[62:63], v[94:95], -v[32:33]
	v_add_f64 v[54:55], v[72:73], -v[76:77]
	v_add_f64 v[52:53], v[62:63], v[74:75]
	v_fma_f64 v[34:35], v[72:73], 2.0, -v[54:55]
	v_fma_f64 v[72:73], v[102:103], 2.0, -v[72:73]
	;; [unrolled: 1-line block ×4, first 2 shown]
	ds_write_b128 v84, v[32:35] offset:320
	v_fma_f64 v[32:33], v[104:105], 2.0, -v[36:37]
	v_fma_f64 v[34:35], v[108:109], 2.0, -v[38:39]
	ds_write_b128 v84, v[32:35] offset:480
	v_fma_f64 v[32:33], v[56:57], 2.0, -v[76:77]
	v_fma_f64 v[34:35], v[58:59], 2.0, -v[74:75]
	;; [unrolled: 1-line block ×4, first 2 shown]
	v_add_f64 v[32:33], v[62:63], -v[32:33]
	v_add_f64 v[34:35], v[72:73], -v[34:35]
	v_fma_f64 v[56:57], v[62:63], 2.0, -v[32:33]
	v_fma_f64 v[58:59], v[72:73], 2.0, -v[34:35]
	ds_write_b128 v84, v[32:35] offset:640
	v_fma_f64 v[32:33], v[78:79], 2.0, -v[122:123]
	v_fma_f64 v[34:35], v[70:71], 2.0, -v[124:125]
	;; [unrolled: 1-line block ×4, first 2 shown]
	v_add_f64 v[70:71], v[116:117], -v[64:65]
	v_fma_f64 v[78:79], v[114:115], 2.0, -v[42:43]
	v_fma_f64 v[72:73], v[139:140], 2.0, -v[44:45]
	v_add_f64 v[60:61], v[34:35], -v[60:61]
	v_add_f64 v[62:63], v[32:33], -v[62:63]
	;; [unrolled: 1-line block ×3, first 2 shown]
	v_fma_f64 v[82:83], v[116:117], 2.0, -v[70:71]
	v_fma_f64 v[34:35], v[34:35], 2.0, -v[60:61]
	;; [unrolled: 1-line block ×4, first 2 shown]
	v_add_f64 v[60:61], v[68:69], v[60:61]
	v_add_f64 v[62:63], v[70:71], -v[62:63]
	v_add_f64 v[66:67], v[82:83], -v[34:35]
	v_add_f64 v[64:65], v[80:81], -v[32:33]
	v_mov_b32_e32 v32, 0x50
	v_fma_f64 v[68:69], v[68:69], 2.0, -v[60:61]
	v_fma_f64 v[70:71], v[70:71], 2.0, -v[62:63]
	v_mul_u32_u24_sdwa v33, v87, v32 dst_sel:DWORD dst_unused:UNUSED_PAD src0_sel:WORD_0 src1_sel:DWORD
	v_or_b32_sdwa v33, v33, v138 dst_sel:DWORD dst_unused:UNUSED_PAD src0_sel:DWORD src1_sel:BYTE_0
	v_lshlrev_b32_e32 v33, 4, v33
	v_fma_f64 v[82:83], v[82:83], 2.0, -v[66:67]
	v_add3_u32 v33, 0, v33, v255
	v_fma_f64 v[80:81], v[80:81], 2.0, -v[64:65]
	ds_write_b128 v84, v[40:43] offset:800
	ds_write_b128 v84, v[52:55] offset:960
	;; [unrolled: 1-line block ×3, first 2 shown]
	ds_write_b128 v84, v[56:59]
	ds_write_b128 v84, v[76:79] offset:160
	ds_write_b128 v33, v[80:83]
	ds_write_b128 v33, v[88:91] offset:160
	ds_write_b128 v33, v[68:71] offset:320
	;; [unrolled: 1-line block ×7, first 2 shown]
	s_and_saveexec_b32 s1, s0
	s_cbranch_execz .LBB0_23
; %bb.22:
	v_or_b32_e32 v33, 48, v128
	v_and_b32_e32 v34, 0xff, v33
	v_mul_lo_u16 v34, 0xcd, v34
	v_lshrrev_b16 v75, 11, v34
	v_mul_lo_u16 v34, v75, 10
	v_mul_u32_u24_sdwa v32, v75, v32 dst_sel:DWORD dst_unused:UNUSED_PAD src0_sel:WORD_0 src1_sel:DWORD
	v_sub_nc_u16 v76, v33, v34
	v_mul_u32_u24_sdwa v33, v76, v86 dst_sel:DWORD dst_unused:UNUSED_PAD src0_sel:BYTE_0 src1_sel:DWORD
	v_or_b32_sdwa v32, v32, v76 dst_sel:DWORD dst_unused:UNUSED_PAD src0_sel:DWORD src1_sel:BYTE_0
	v_lshlrev_b32_e32 v57, 4, v33
	v_lshlrev_b32_e32 v32, 4, v32
	s_clause 0x6
	global_load_dwordx4 v[33:36], v57, s[12:13] offset:48
	global_load_dwordx4 v[37:40], v57, s[12:13] offset:16
	;; [unrolled: 1-line block ×3, first 2 shown]
	global_load_dwordx4 v[45:48], v57, s[12:13]
	global_load_dwordx4 v[49:52], v57, s[12:13] offset:64
	global_load_dwordx4 v[53:56], v57, s[12:13] offset:32
	;; [unrolled: 1-line block ×3, first 2 shown]
	v_add3_u32 v32, 0, v32, v255
	s_waitcnt vmcnt(6)
	v_mul_f64 v[61:62], v[16:17], v[35:36]
	s_waitcnt vmcnt(5)
	v_mul_f64 v[63:64], v[10:11], v[39:40]
	;; [unrolled: 2-line block ×7, first 2 shown]
	v_mul_f64 v[47:48], v[2:3], v[47:48]
	v_mul_f64 v[39:40], v[8:9], v[39:40]
	;; [unrolled: 1-line block ×7, first 2 shown]
	v_fma_f64 v[18:19], v[18:19], v[33:34], -v[61:62]
	v_fma_f64 v[8:9], v[8:9], v[37:38], v[63:64]
	v_fma_f64 v[24:25], v[24:25], v[41:42], v[65:66]
	v_fma_f64 v[2:3], v[2:3], v[45:46], -v[67:68]
	v_fma_f64 v[22:23], v[22:23], v[49:50], -v[69:70]
	v_fma_f64 v[12:13], v[12:13], v[53:54], v[71:72]
	v_fma_f64 v[28:29], v[28:29], v[57:58], v[73:74]
	;; [unrolled: 1-line block ×3, first 2 shown]
	v_fma_f64 v[10:11], v[10:11], v[37:38], -v[39:40]
	v_fma_f64 v[26:27], v[26:27], v[41:42], -v[43:44]
	v_fma_f64 v[20:21], v[20:21], v[49:50], v[51:52]
	v_fma_f64 v[16:17], v[16:17], v[33:34], v[35:36]
	v_fma_f64 v[14:15], v[14:15], v[53:54], -v[55:56]
	v_fma_f64 v[30:31], v[30:31], v[57:58], -v[59:60]
	v_add_f64 v[18:19], v[6:7], -v[18:19]
	v_add_f64 v[24:25], v[8:9], -v[24:25]
	;; [unrolled: 1-line block ×8, first 2 shown]
	v_fma_f64 v[6:7], v[6:7], 2.0, -v[18:19]
	v_add_f64 v[33:34], v[18:19], -v[24:25]
	v_fma_f64 v[8:9], v[8:9], 2.0, -v[24:25]
	v_fma_f64 v[2:3], v[2:3], 2.0, -v[22:23]
	v_add_f64 v[35:36], v[22:23], -v[28:29]
	v_fma_f64 v[12:13], v[12:13], 2.0, -v[28:29]
	v_fma_f64 v[10:11], v[10:11], 2.0, -v[26:27]
	;; [unrolled: 1-line block ×4, first 2 shown]
	v_add_f64 v[26:27], v[16:17], v[26:27]
	v_fma_f64 v[14:15], v[14:15], 2.0, -v[30:31]
	v_add_f64 v[24:25], v[20:21], v[30:31]
	v_fma_f64 v[30:31], v[18:19], 2.0, -v[33:34]
	v_fma_f64 v[18:19], v[22:23], 2.0, -v[35:36]
	v_add_f64 v[28:29], v[6:7], -v[10:11]
	v_add_f64 v[10:11], v[0:1], -v[12:13]
	;; [unrolled: 1-line block ×3, first 2 shown]
	v_fma_f64 v[39:40], v[16:17], 2.0, -v[26:27]
	v_add_f64 v[12:13], v[2:3], -v[14:15]
	v_fma_f64 v[8:9], v[20:21], 2.0, -v[24:25]
	v_fma_f64 v[14:15], v[35:36], s[6:7], v[33:34]
	v_fma_f64 v[16:17], v[24:25], s[6:7], v[26:27]
	;; [unrolled: 1-line block ×3, first 2 shown]
	v_fma_f64 v[41:42], v[6:7], 2.0, -v[28:29]
	v_fma_f64 v[45:46], v[0:1], 2.0, -v[10:11]
	;; [unrolled: 1-line block ×3, first 2 shown]
	v_add_f64 v[6:7], v[28:29], -v[10:11]
	v_fma_f64 v[22:23], v[2:3], 2.0, -v[12:13]
	v_fma_f64 v[47:48], v[8:9], s[4:5], v[39:40]
	v_add_f64 v[4:5], v[37:38], v[12:13]
	v_fma_f64 v[2:3], v[24:25], s[4:5], v[14:15]
	v_fma_f64 v[0:1], v[35:36], s[6:7], v[16:17]
	;; [unrolled: 1-line block ×3, first 2 shown]
	v_add_f64 v[12:13], v[43:44], -v[45:46]
	v_add_f64 v[14:15], v[41:42], -v[22:23]
	v_fma_f64 v[8:9], v[18:19], s[6:7], v[47:48]
	v_fma_f64 v[22:23], v[28:29], 2.0, -v[6:7]
	v_fma_f64 v[20:21], v[37:38], 2.0, -v[4:5]
	;; [unrolled: 1-line block ×8, first 2 shown]
	ds_write_b128 v32, v[4:7] offset:960
	ds_write_b128 v32, v[20:23] offset:320
	;; [unrolled: 1-line block ×5, first 2 shown]
	ds_write_b128 v32, v[28:31]
	ds_write_b128 v32, v[24:27] offset:160
	ds_write_b128 v32, v[0:3] offset:1120
.LBB0_23:
	s_or_b32 exec_lo, exec_lo, s1
	v_mul_u32_u24_e32 v0, 5, v128
	s_waitcnt lgkmcnt(0)
	s_barrier
	buffer_gl0_inv
	v_lshl_add_u32 v25, v128, 4, 0
	v_lshlrev_b32_e32 v8, 4, v0
	s_mov_b32 s4, 0xe8584caa
	s_mov_b32 s5, 0xbfebb67a
	;; [unrolled: 1-line block ×3, first 2 shown]
	s_clause 0x1
	global_load_dwordx4 v[4:7], v8, s[12:13] offset:1120
	global_load_dwordx4 v[0:3], v8, s[12:13] offset:1136
	v_add_co_u32 v12, s0, s12, v8
	v_add_co_ci_u32_e64 v13, null, s13, 0, s0
	v_add_nc_u32_e32 v10, 0x1400, v8
	s_clause 0x4
	global_load_dwordx4 v[48:51], v8, s[12:13] offset:1152
	global_load_dwordx4 v[44:47], v8, s[12:13] offset:1168
	;; [unrolled: 1-line block ×5, first 2 shown]
	v_add_co_u32 v8, s0, 0x500, v12
	v_add_co_ci_u32_e64 v9, s0, 0, v13, s0
	s_clause 0x6
	global_load_dwordx4 v[28:31], v10, s[12:13] offset:1168
	global_load_dwordx4 v[40:43], v10, s[12:13] offset:1152
	;; [unrolled: 1-line block ×3, first 2 shown]
	global_load_dwordx4 v[105:108], v[8:9], off offset:1120
	global_load_dwordx4 v[109:112], v[8:9], off offset:1136
	;; [unrolled: 1-line block ×4, first 2 shown]
	v_add_co_u32 v10, s0, 0xa00, v12
	v_add_co_ci_u32_e64 v11, s0, 0, v13, s0
	s_clause 0x4
	global_load_dwordx4 v[117:120], v[8:9], off offset:1184
	global_load_dwordx4 v[96:99], v[10:11], off offset:1120
	;; [unrolled: 1-line block ×5, first 2 shown]
	v_add_co_u32 v8, s0, 0xf00, v12
	v_add_co_ci_u32_e64 v9, s0, 0, v13, s0
	s_clause 0x5
	global_load_dwordx4 v[80:83], v[10:11], off offset:1184
	global_load_dwordx4 v[76:79], v[8:9], off offset:1120
	;; [unrolled: 1-line block ×6, first 2 shown]
	ds_read_b128 v[121:124], v129 offset:1280
	ds_read_b128 v[134:137], v129 offset:3840
	;; [unrolled: 1-line block ×3, first 2 shown]
	ds_read_b128 v[20:23], v186
	ds_read_b128 v[12:15], v129 offset:256
	ds_read_b128 v[142:145], v129 offset:2560
	;; [unrolled: 1-line block ×17, first 2 shown]
	buffer_load_dword v24, off, s[28:31], 0 ; 4-byte Folded Reload
	s_mov_b32 s0, s4
	s_waitcnt vmcnt(25) lgkmcnt(20)
	v_mul_f64 v[125:126], v[123:124], v[6:7]
	v_mul_f64 v[6:7], v[121:122], v[6:7]
	s_waitcnt vmcnt(24) lgkmcnt(15)
	v_mul_f64 v[182:183], v[144:145], v[2:3]
	v_mul_f64 v[2:3], v[142:143], v[2:3]
	s_waitcnt vmcnt(23)
	v_mul_f64 v[233:234], v[136:137], v[50:51]
	v_mul_f64 v[50:51], v[134:135], v[50:51]
	s_waitcnt vmcnt(22) lgkmcnt(13)
	v_mul_f64 v[235:236], v[152:153], v[46:47]
	v_mul_f64 v[46:47], v[150:151], v[46:47]
	s_waitcnt vmcnt(21)
	v_mul_f64 v[237:238], v[140:141], v[38:39]
	v_mul_f64 v[38:39], v[138:139], v[38:39]
	v_fma_f64 v[121:122], v[121:122], v[4:5], v[125:126]
	v_fma_f64 v[4:5], v[123:124], v[4:5], -v[6:7]
	v_fma_f64 v[125:126], v[142:143], v[0:1], v[182:183]
	v_fma_f64 v[0:1], v[144:145], v[0:1], -v[2:3]
	s_waitcnt vmcnt(15) lgkmcnt(11)
	v_mul_f64 v[142:143], v[160:161], v[107:108]
	v_mul_f64 v[107:108], v[158:159], v[107:108]
	v_fma_f64 v[134:135], v[134:135], v[48:49], v[233:234]
	v_fma_f64 v[48:49], v[136:137], v[48:49], -v[50:51]
	s_waitcnt vmcnt(14)
	v_mul_f64 v[50:51], v[148:149], v[111:112]
	s_waitcnt vmcnt(0)
	v_lshl_add_u32 v100, v24, 4, v25
	ds_read_b128 v[24:27], v129 offset:1024
	ds_read_b128 v[185:188], v129 offset:2048
	;; [unrolled: 1-line block ×9, first 2 shown]
	v_mul_f64 v[111:112], v[146:147], v[111:112]
	s_waitcnt lgkmcnt(18)
	v_mul_f64 v[136:137], v[168:169], v[115:116]
	v_mul_f64 v[115:116], v[166:167], v[115:116]
	v_fma_f64 v[144:145], v[150:151], v[44:45], v[235:236]
	s_waitcnt lgkmcnt(16)
	v_mul_f64 v[150:151], v[176:177], v[119:120]
	v_mul_f64 v[119:120], v[174:175], v[119:120]
	v_fma_f64 v[44:45], v[152:153], v[44:45], -v[46:47]
	v_fma_f64 v[138:139], v[138:139], v[36:37], v[237:238]
	v_fma_f64 v[36:37], v[140:141], v[36:37], -v[38:39]
	v_mul_f64 v[38:39], v[164:165], v[98:99]
	v_mul_f64 v[98:99], v[162:163], v[98:99]
	s_waitcnt lgkmcnt(12)
	v_mul_f64 v[140:141], v[191:192], v[90:91]
	s_waitcnt lgkmcnt(10)
	v_mul_f64 v[182:183], v[199:200], v[70:71]
	v_mul_f64 v[70:71], v[197:198], v[70:71]
	s_waitcnt lgkmcnt(6)
	v_mul_f64 v[239:240], v[207:208], v[54:55]
	;; [unrolled: 3-line block ×6, first 2 shown]
	v_mul_f64 v[103:104], v[229:230], v[103:104]
	v_mul_f64 v[90:91], v[189:190], v[90:91]
	;; [unrolled: 1-line block ×4, first 2 shown]
	v_fma_f64 v[50:51], v[146:147], v[109:110], v[50:51]
	s_barrier
	buffer_gl0_inv
	v_fma_f64 v[38:39], v[162:163], v[96:97], v[38:39]
	v_fma_f64 v[96:97], v[164:165], v[96:97], -v[98:99]
	v_fma_f64 v[98:99], v[189:190], v[88:89], v[140:141]
	v_fma_f64 v[152:153], v[205:206], v[52:53], v[239:240]
	v_fma_f64 v[52:53], v[207:208], v[52:53], -v[54:55]
	v_mul_f64 v[54:55], v[172:173], v[86:87]
	v_mul_f64 v[86:87], v[170:171], v[86:87]
	v_fma_f64 v[205:206], v[209:210], v[32:33], v[241:242]
	v_fma_f64 v[32:33], v[211:212], v[32:33], -v[34:35]
	v_mul_f64 v[34:35], v[180:181], v[82:83]
	v_mul_f64 v[82:83], v[178:179], v[82:83]
	v_mul_f64 v[207:208], v[187:188], v[78:79]
	v_mul_f64 v[78:79], v[185:186], v[78:79]
	v_fma_f64 v[6:7], v[217:218], v[40:41], v[6:7]
	v_fma_f64 v[40:41], v[219:220], v[40:41], -v[42:43]
	v_mul_f64 v[42:43], v[195:196], v[74:75]
	v_mul_f64 v[74:75], v[193:194], v[74:75]
	v_mul_f64 v[209:210], v[215:216], v[66:67]
	v_mul_f64 v[66:67], v[213:214], v[66:67]
	v_fma_f64 v[123:124], v[221:222], v[28:29], v[123:124]
	v_fma_f64 v[28:29], v[223:224], v[28:29], -v[30:31]
	v_mul_f64 v[30:31], v[203:204], v[62:63]
	v_mul_f64 v[62:63], v[201:202], v[62:63]
	v_mul_f64 v[211:212], v[227:228], v[58:59]
	v_mul_f64 v[58:59], v[225:226], v[58:59]
	v_fma_f64 v[2:3], v[229:230], v[101:102], v[2:3]
	v_fma_f64 v[101:102], v[231:232], v[101:102], -v[103:104]
	v_fma_f64 v[103:104], v[158:159], v[105:106], v[142:143]
	v_fma_f64 v[105:106], v[160:161], v[105:106], -v[107:108]
	v_fma_f64 v[107:108], v[148:149], v[109:110], -v[111:112]
	v_fma_f64 v[109:110], v[166:167], v[113:114], v[136:137]
	v_fma_f64 v[111:112], v[168:169], v[113:114], -v[115:116]
	v_fma_f64 v[113:114], v[176:177], v[117:118], -v[119:120]
	v_fma_f64 v[54:55], v[170:171], v[84:85], v[54:55]
	v_fma_f64 v[84:85], v[172:173], v[84:85], -v[86:87]
	v_fma_f64 v[86:87], v[197:198], v[68:69], v[182:183]
	v_fma_f64 v[68:69], v[199:200], v[68:69], -v[70:71]
	v_fma_f64 v[70:71], v[180:181], v[80:81], -v[82:83]
	;; [unrolled: 1-line block ×3, first 2 shown]
	v_fma_f64 v[34:35], v[178:179], v[80:81], v[34:35]
	v_fma_f64 v[80:81], v[185:186], v[76:77], v[207:208]
	v_fma_f64 v[76:77], v[187:188], v[76:77], -v[78:79]
	v_fma_f64 v[42:43], v[193:194], v[72:73], v[42:43]
	v_fma_f64 v[72:73], v[195:196], v[72:73], -v[74:75]
	;; [unrolled: 2-line block ×6, first 2 shown]
	v_fma_f64 v[94:95], v[174:175], v[117:118], v[150:151]
	v_add_f64 v[58:59], v[20:21], v[125:126]
	v_add_f64 v[66:67], v[125:126], v[144:145]
	v_add_f64 v[90:91], v[125:126], -v[144:145]
	v_add_f64 v[117:118], v[134:135], v[138:139]
	v_add_f64 v[119:120], v[48:49], -v[36:37]
	v_add_f64 v[125:126], v[4:5], v[48:49]
	v_add_f64 v[48:49], v[48:49], v[36:37]
	v_add_f64 v[78:79], v[0:1], -v[44:45]
	v_add_f64 v[82:83], v[22:23], v[0:1]
	v_add_f64 v[0:1], v[0:1], v[44:45]
	v_add_f64 v[115:116], v[121:122], v[134:135]
	v_add_f64 v[156:157], v[40:41], -v[101:102]
	v_add_f64 v[158:159], v[52:53], v[40:41]
	;; [unrolled: 4-line block ×5, first 2 shown]
	v_add_f64 v[166:167], v[14:15], v[107:108]
	v_add_f64 v[168:169], v[103:104], v[109:110]
	;; [unrolled: 1-line block ×3, first 2 shown]
	v_add_f64 v[188:189], v[84:85], -v[70:71]
	v_add_f64 v[190:191], v[96:97], v[84:85]
	v_add_f64 v[84:85], v[84:85], v[70:71]
	v_add_f64 v[140:141], v[205:206], v[123:124]
	v_add_f64 v[148:149], v[205:206], -v[123:124]
	v_add_f64 v[182:183], v[18:19], v[88:89]
	v_add_f64 v[204:205], v[64:65], -v[56:57]
	v_add_f64 v[206:207], v[76:77], v[64:65]
	v_add_f64 v[64:65], v[64:65], v[56:57]
	v_add_f64 v[134:135], v[134:135], -v[138:139]
	v_add_f64 v[176:177], v[16:17], v[98:99]
	v_add_f64 v[180:181], v[88:89], -v[68:69]
	v_add_f64 v[88:89], v[88:89], v[68:69]
	v_add_f64 v[184:185], v[38:39], v[54:55]
	;; [unrolled: 1-line block ×6, first 2 shown]
	v_fma_f64 v[20:21], v[66:67], -0.5, v[20:21]
	v_fma_f64 v[66:67], v[117:118], -0.5, v[121:122]
	;; [unrolled: 1-line block ×3, first 2 shown]
	v_add_f64 v[194:195], v[42:43], v[30:31]
	v_add_f64 v[196:197], v[72:73], -v[60:61]
	v_add_f64 v[72:73], v[72:73], v[60:61]
	v_add_f64 v[58:59], v[58:59], v[144:145]
	;; [unrolled: 1-line block ×3, first 2 shown]
	v_fma_f64 v[0:1], v[0:1], -0.5, v[22:23]
	v_add_f64 v[22:23], v[115:116], v[138:139]
	v_add_f64 v[36:37], v[125:126], v[36:37]
	v_fma_f64 v[40:41], v[40:41], -0.5, v[52:53]
	v_add_f64 v[164:165], v[107:108], -v[92:93]
	v_add_f64 v[107:108], v[107:108], v[92:93]
	v_add_f64 v[170:171], v[109:110], v[94:95]
	v_add_f64 v[109:110], v[109:110], -v[94:95]
	v_add_f64 v[48:49], v[136:137], v[123:124]
	v_add_f64 v[28:29], v[146:147], v[28:29]
	v_fma_f64 v[26:27], v[32:33], -0.5, v[26:27]
	v_add_f64 v[32:33], v[150:151], v[2:3]
	v_add_f64 v[101:102], v[158:159], v[101:102]
	v_fma_f64 v[105:106], v[111:112], -0.5, v[105:106]
	v_add_f64 v[162:163], v[50:51], v[46:47]
	v_add_f64 v[50:51], v[50:51], -v[46:47]
	v_add_f64 v[54:55], v[54:55], -v[34:35]
	v_add_f64 v[202:203], v[74:75], v[62:63]
	v_add_f64 v[46:47], v[6:7], v[46:47]
	;; [unrolled: 1-line block ×5, first 2 shown]
	v_fma_f64 v[111:112], v[178:179], -0.5, v[16:17]
	v_fma_f64 v[84:85], v[84:85], -0.5, v[96:97]
	v_add_f64 v[74:75], v[74:75], -v[62:63]
	v_add_f64 v[68:69], v[182:183], v[68:69]
	v_add_f64 v[70:71], v[190:191], v[70:71]
	v_fma_f64 v[64:65], v[64:65], -0.5, v[76:77]
	v_add_f64 v[98:99], v[98:99], -v[86:87]
	v_fma_f64 v[24:25], v[140:141], -0.5, v[24:25]
	v_add_f64 v[86:87], v[176:177], v[86:87]
	v_fma_f64 v[88:89], v[88:89], -0.5, v[18:19]
	v_add_f64 v[34:35], v[184:185], v[34:35]
	;; [unrolled: 2-line block ×3, first 2 shown]
	v_add_f64 v[60:61], v[198:199], v[60:61]
	v_add_f64 v[62:63], v[200:201], v[62:63]
	;; [unrolled: 1-line block ×3, first 2 shown]
	v_fma_f64 v[121:122], v[119:120], s[4:5], v[66:67]
	v_fma_f64 v[66:67], v[119:120], s[0:1], v[66:67]
	;; [unrolled: 1-line block ×3, first 2 shown]
	v_add_f64 v[42:43], v[42:43], -v[30:31]
	v_fma_f64 v[115:116], v[194:195], -0.5, v[8:9]
	v_fma_f64 v[72:73], v[72:73], -0.5, v[10:11]
	v_fma_f64 v[123:124], v[134:135], s[4:5], v[4:5]
	v_fma_f64 v[82:83], v[154:155], -0.5, v[152:153]
	v_fma_f64 v[117:118], v[90:91], s[0:1], v[0:1]
	v_fma_f64 v[90:91], v[90:91], s[4:5], v[0:1]
	v_add_f64 v[0:1], v[58:59], v[22:23]
	v_add_f64 v[2:3], v[44:45], v[36:37]
	v_fma_f64 v[138:139], v[160:161], s[0:1], v[40:41]
	v_add_f64 v[4:5], v[58:59], -v[22:23]
	v_add_f64 v[6:7], v[44:45], -v[36:37]
	v_fma_f64 v[40:41], v[160:161], s[4:5], v[40:41]
	v_fma_f64 v[107:108], v[107:108], -0.5, v[14:15]
	v_fma_f64 v[103:104], v[170:171], -0.5, v[103:104]
	v_add_f64 v[8:9], v[48:49], v[32:33]
	v_add_f64 v[10:11], v[28:29], v[101:102]
	v_fma_f64 v[140:141], v[109:110], s[0:1], v[105:106]
	v_fma_f64 v[52:53], v[162:163], -0.5, v[12:13]
	v_add_f64 v[12:13], v[48:49], -v[32:33]
	v_add_f64 v[14:15], v[28:29], -v[101:102]
	v_fma_f64 v[105:106], v[109:110], s[4:5], v[105:106]
	v_fma_f64 v[80:81], v[202:203], -0.5, v[80:81]
	v_fma_f64 v[76:77], v[78:79], s[4:5], v[20:21]
	v_fma_f64 v[78:79], v[78:79], s[0:1], v[20:21]
	v_add_f64 v[16:17], v[46:47], v[94:95]
	v_add_f64 v[18:19], v[92:93], v[113:114]
	v_add_f64 v[20:21], v[46:47], -v[94:95]
	v_add_f64 v[22:23], v[92:93], -v[113:114]
	v_fma_f64 v[92:93], v[180:181], s[4:5], v[111:112]
	v_fma_f64 v[94:95], v[180:181], s[0:1], v[111:112]
	;; [unrolled: 1-line block ×6, first 2 shown]
	v_add_f64 v[26:27], v[68:69], v[70:71]
	v_add_f64 v[30:31], v[68:69], -v[70:71]
	v_fma_f64 v[70:71], v[74:75], s[0:1], v[64:65]
	v_fma_f64 v[64:65], v[74:75], s[4:5], v[64:65]
	v_fma_f64 v[44:45], v[142:143], s[4:5], v[24:25]
	v_fma_f64 v[58:59], v[142:143], s[0:1], v[24:25]
	v_fma_f64 v[109:110], v[98:99], s[0:1], v[88:89]
	v_fma_f64 v[88:89], v[98:99], s[4:5], v[88:89]
	v_fma_f64 v[46:47], v[188:189], s[4:5], v[38:39]
	v_fma_f64 v[98:99], v[188:189], s[0:1], v[38:39]
	v_add_f64 v[24:25], v[86:87], v[34:35]
	v_add_f64 v[28:29], v[86:87], -v[34:35]
	v_add_f64 v[32:33], v[96:97], v[62:63]
	v_add_f64 v[34:35], v[60:61], v[56:57]
	v_add_f64 v[36:37], v[96:97], -v[62:63]
	v_add_f64 v[38:39], v[60:61], -v[56:57]
	v_mul_f64 v[56:57], v[119:120], s[4:5]
	v_mul_f64 v[62:63], v[119:120], 0.5
	v_fma_f64 v[84:85], v[196:197], s[4:5], v[115:116]
	v_fma_f64 v[86:87], v[196:197], s[0:1], v[115:116]
	;; [unrolled: 1-line block ×4, first 2 shown]
	v_mul_f64 v[60:61], v[123:124], s[4:5]
	v_mul_f64 v[72:73], v[123:124], -0.5
	v_fma_f64 v[136:137], v[156:157], s[4:5], v[82:83]
	ds_write_b128 v129, v[0:3]
	ds_write_b128 v129, v[4:7] offset:3840
	v_mul_f64 v[0:1], v[138:139], s[4:5]
	v_mul_f64 v[4:5], v[138:139], 0.5
	v_fma_f64 v[82:83], v[156:157], s[0:1], v[82:83]
	v_mul_f64 v[2:3], v[40:41], s[4:5]
	v_mul_f64 v[6:7], v[40:41], -0.5
	v_fma_f64 v[101:102], v[50:51], s[0:1], v[107:108]
	v_fma_f64 v[107:108], v[50:51], s[4:5], v[107:108]
	;; [unrolled: 1-line block ×3, first 2 shown]
	ds_write_b128 v129, v[8:11] offset:1024
	ds_write_b128 v100, v[12:15] offset:4864
	v_mul_f64 v[8:9], v[140:141], s[4:5]
	v_mul_f64 v[12:13], v[140:141], 0.5
	v_fma_f64 v[103:104], v[172:173], s[0:1], v[103:104]
	v_mul_f64 v[10:11], v[105:106], s[4:5]
	v_mul_f64 v[14:15], v[105:106], -0.5
	v_fma_f64 v[42:43], v[204:205], s[4:5], v[80:81]
	v_fma_f64 v[68:69], v[204:205], s[0:1], v[80:81]
	v_mul_f64 v[40:41], v[111:112], s[4:5]
	v_mul_f64 v[80:81], v[111:112], 0.5
	v_mul_f64 v[74:75], v[54:55], s[4:5]
	v_mul_f64 v[54:55], v[54:55], -0.5
	v_mul_f64 v[96:97], v[70:71], s[4:5]
	v_mul_f64 v[70:71], v[70:71], 0.5
	v_mul_f64 v[105:106], v[64:65], s[4:5]
	v_mul_f64 v[64:65], v[64:65], -0.5
	ds_write_b128 v129, v[16:19] offset:256
	ds_write_b128 v100, v[20:23] offset:4096
	v_fma_f64 v[16:17], v[121:122], 0.5, v[56:57]
	v_fma_f64 v[20:21], v[121:122], s[0:1], v[62:63]
	v_fma_f64 v[18:19], v[66:67], -0.5, v[60:61]
	v_fma_f64 v[22:23], v[66:67], s[0:1], v[72:73]
	ds_write_b128 v129, v[24:27] offset:512
	ds_write_b128 v100, v[28:31] offset:4352
	v_fma_f64 v[24:25], v[136:137], 0.5, v[0:1]
	v_fma_f64 v[30:31], v[136:137], s[0:1], v[4:5]
	v_fma_f64 v[26:27], v[82:83], -0.5, v[2:3]
	v_fma_f64 v[56:57], v[82:83], s[0:1], v[6:7]
	v_fma_f64 v[48:49], v[164:165], s[4:5], v[52:53]
	v_fma_f64 v[60:61], v[50:51], 0.5, v[8:9]
	v_fma_f64 v[50:51], v[50:51], s[0:1], v[12:13]
	v_fma_f64 v[52:53], v[164:165], s[0:1], v[52:53]
	v_fma_f64 v[62:63], v[103:104], -0.5, v[10:11]
	v_fma_f64 v[66:67], v[103:104], s[0:1], v[14:15]
	v_fma_f64 v[72:73], v[46:47], 0.5, v[40:41]
	v_fma_f64 v[80:81], v[46:47], s[0:1], v[80:81]
	v_fma_f64 v[74:75], v[98:99], -0.5, v[74:75]
	v_fma_f64 v[82:83], v[98:99], s[0:1], v[54:55]
	v_fma_f64 v[96:97], v[42:43], 0.5, v[96:97]
	v_fma_f64 v[103:104], v[42:43], s[0:1], v[70:71]
	v_fma_f64 v[98:99], v[68:69], -0.5, v[105:106]
	v_fma_f64 v[105:106], v[68:69], s[0:1], v[64:65]
	v_add_f64 v[0:1], v[76:77], v[16:17]
	v_add_f64 v[2:3], v[117:118], v[20:21]
	v_add_f64 v[4:5], v[78:79], v[18:19]
	v_add_f64 v[6:7], v[90:91], v[22:23]
	v_add_f64 v[8:9], v[76:77], -v[16:17]
	v_add_f64 v[10:11], v[117:118], -v[20:21]
	v_add_f64 v[12:13], v[78:79], -v[18:19]
	v_add_f64 v[14:15], v[90:91], -v[22:23]
	v_add_f64 v[16:17], v[44:45], v[24:25]
	v_add_f64 v[18:19], v[125:126], v[30:31]
	v_add_f64 v[20:21], v[58:59], v[26:27]
	v_add_f64 v[22:23], v[134:135], v[56:57]
	v_add_f64 v[24:25], v[44:45], -v[24:25]
	v_add_f64 v[28:29], v[58:59], -v[26:27]
	v_add_f64 v[26:27], v[125:126], -v[30:31]
	v_add_f64 v[30:31], v[134:135], -v[56:57]
	;; [unrolled: 8-line block ×5, first 2 shown]
	ds_write_b128 v129, v[32:35] offset:768
	ds_write_b128 v100, v[36:39] offset:4608
	;; [unrolled: 1-line block ×22, first 2 shown]
	s_waitcnt lgkmcnt(0)
	s_barrier
	buffer_gl0_inv
	s_and_saveexec_b32 s0, vcc_lo
	s_cbranch_execz .LBB0_25
; %bb.24:
	buffer_load_dword v4, off, s[28:31], 0 offset:20 ; 4-byte Folded Reload
	v_mul_lo_u32 v2, s3, v132
	v_mul_lo_u32 v3, s2, v133
	v_mad_u64_u32 v[0:1], null, s2, v132, 0
	v_mov_b32_e32 v129, 0
	v_lshlrev_b64 v[12:13], 4, v[130:131]
	v_add_nc_u32_e32 v14, 16, v128
	v_add_nc_u32_e32 v16, 32, v128
	;; [unrolled: 1-line block ×3, first 2 shown]
	v_mov_b32_e32 v15, v129
	v_add3_u32 v1, v1, v3, v2
	v_lshlrev_b64 v[18:19], 4, v[128:129]
	v_mov_b32_e32 v17, v129
	v_mov_b32_e32 v27, v129
	v_add_nc_u32_e32 v28, 64, v128
	v_lshlrev_b64 v[8:9], 4, v[0:1]
	v_mov_b32_e32 v29, v129
	v_lshlrev_b64 v[26:27], 4, v[26:27]
	v_add_co_u32 v20, vcc_lo, s10, v8
	v_add_co_ci_u32_e32 v21, vcc_lo, s11, v9, vcc_lo
	v_add_co_u32 v31, vcc_lo, v20, v12
	v_add_co_ci_u32_e32 v32, vcc_lo, v21, v13, vcc_lo
	v_lshlrev_b64 v[12:13], 4, v[14:15]
	v_add_co_u32 v20, vcc_lo, v31, v18
	v_lshlrev_b64 v[14:15], 4, v[16:17]
	v_add_co_ci_u32_e32 v21, vcc_lo, v32, v19, vcc_lo
	v_add_co_u32 v22, vcc_lo, v31, v12
	v_add_co_ci_u32_e32 v23, vcc_lo, v32, v13, vcc_lo
	v_add_co_u32 v24, vcc_lo, v31, v14
	v_add_co_ci_u32_e32 v25, vcc_lo, v32, v15, vcc_lo
	s_waitcnt vmcnt(0)
	v_lshl_add_u32 v30, v128, 4, v4
	ds_read_b128 v[0:3], v30
	ds_read_b128 v[4:7], v30 offset:256
	ds_read_b128 v[8:11], v30 offset:512
	;; [unrolled: 1-line block ×4, first 2 shown]
	s_waitcnt lgkmcnt(4)
	global_store_dwordx4 v[20:21], v[0:3], off
	s_waitcnt lgkmcnt(3)
	global_store_dwordx4 v[22:23], v[4:7], off
	;; [unrolled: 2-line block ×3, first 2 shown]
	v_lshlrev_b64 v[0:1], 4, v[28:29]
	v_add_co_u32 v2, vcc_lo, v31, v26
	v_add_co_ci_u32_e32 v3, vcc_lo, v32, v27, vcc_lo
	v_add_nc_u32_e32 v6, 0x50, v128
	v_add_co_u32 v4, vcc_lo, v31, v0
	v_add_co_ci_u32_e32 v5, vcc_lo, v32, v1, vcc_lo
	v_mov_b32_e32 v7, v129
	v_add_nc_u32_e32 v8, 0x60, v128
	v_mov_b32_e32 v9, v129
	s_waitcnt lgkmcnt(1)
	global_store_dwordx4 v[2:3], v[12:15], off
	s_waitcnt lgkmcnt(0)
	global_store_dwordx4 v[4:5], v[16:19], off
	v_lshlrev_b64 v[12:13], 4, v[6:7]
	ds_read_b128 v[0:3], v30 offset:1280
	v_lshlrev_b64 v[14:15], 4, v[8:9]
	v_add_nc_u32_e32 v16, 0x70, v128
	v_mov_b32_e32 v17, v129
	ds_read_b128 v[4:7], v30 offset:1536
	ds_read_b128 v[8:11], v30 offset:1792
	v_add_co_u32 v20, vcc_lo, v31, v12
	v_add_co_ci_u32_e32 v21, vcc_lo, v32, v13, vcc_lo
	v_lshlrev_b64 v[16:17], 4, v[16:17]
	v_add_co_u32 v22, vcc_lo, v31, v14
	v_add_co_ci_u32_e32 v23, vcc_lo, v32, v15, vcc_lo
	ds_read_b128 v[12:15], v30 offset:2048
	v_add_co_u32 v26, vcc_lo, v31, v16
	v_add_nc_u32_e32 v24, 0x80, v128
	v_mov_b32_e32 v25, v129
	v_add_co_ci_u32_e32 v27, vcc_lo, v32, v17, vcc_lo
	ds_read_b128 v[16:19], v30 offset:2304
	v_add_nc_u32_e32 v28, 0x90, v128
	v_lshlrev_b64 v[24:25], 4, v[24:25]
	s_waitcnt lgkmcnt(4)
	global_store_dwordx4 v[20:21], v[0:3], off
	s_waitcnt lgkmcnt(3)
	global_store_dwordx4 v[22:23], v[4:7], off
	;; [unrolled: 2-line block ×3, first 2 shown]
	v_add_nc_u32_e32 v4, 0xa0, v128
	v_mov_b32_e32 v5, v129
	v_lshlrev_b64 v[0:1], 4, v[28:29]
	v_add_nc_u32_e32 v8, 0xb0, v128
	v_add_co_u32 v2, vcc_lo, v31, v24
	v_add_co_ci_u32_e32 v3, vcc_lo, v32, v25, vcc_lo
	v_add_co_u32 v0, vcc_lo, v31, v0
	v_add_co_ci_u32_e32 v1, vcc_lo, v32, v1, vcc_lo
	s_waitcnt lgkmcnt(1)
	global_store_dwordx4 v[2:3], v[12:15], off
	v_mov_b32_e32 v9, v129
	v_lshlrev_b64 v[12:13], 4, v[4:5]
	v_add_nc_u32_e32 v26, 0xd0, v128
	s_waitcnt lgkmcnt(0)
	global_store_dwordx4 v[0:1], v[16:19], off
	ds_read_b128 v[0:3], v30 offset:2560
	ds_read_b128 v[4:7], v30 offset:2816
	v_add_nc_u32_e32 v16, 0xc0, v128
	v_mov_b32_e32 v17, v129
	v_lshlrev_b64 v[14:15], 4, v[8:9]
	ds_read_b128 v[8:11], v30 offset:3072
	v_add_co_u32 v20, vcc_lo, v31, v12
	v_add_co_ci_u32_e32 v21, vcc_lo, v32, v13, vcc_lo
	v_lshlrev_b64 v[12:13], 4, v[16:17]
	v_add_co_u32 v22, vcc_lo, v31, v14
	v_add_co_ci_u32_e32 v23, vcc_lo, v32, v15, vcc_lo
	v_mov_b32_e32 v27, v129
	v_add_co_u32 v24, vcc_lo, v31, v12
	v_add_co_ci_u32_e32 v25, vcc_lo, v32, v13, vcc_lo
	ds_read_b128 v[12:15], v30 offset:3328
	ds_read_b128 v[16:19], v30 offset:3584
	v_add_nc_u32_e32 v28, 0xe0, v128
	v_lshlrev_b64 v[26:27], 4, v[26:27]
	s_waitcnt lgkmcnt(4)
	global_store_dwordx4 v[20:21], v[0:3], off
	s_waitcnt lgkmcnt(3)
	global_store_dwordx4 v[22:23], v[4:7], off
	;; [unrolled: 2-line block ×3, first 2 shown]
	v_add_nc_u32_e32 v6, 0xf0, v128
	v_mov_b32_e32 v7, v129
	v_lshlrev_b64 v[0:1], 4, v[28:29]
	v_add_nc_u32_e32 v8, 0x100, v128
	v_add_co_u32 v2, vcc_lo, v31, v26
	v_add_co_ci_u32_e32 v3, vcc_lo, v32, v27, vcc_lo
	v_add_co_u32 v4, vcc_lo, v31, v0
	v_add_co_ci_u32_e32 v5, vcc_lo, v32, v1, vcc_lo
	v_mov_b32_e32 v9, v129
	v_add_nc_u32_e32 v24, 0x120, v128
	v_mov_b32_e32 v25, v129
	s_waitcnt lgkmcnt(1)
	global_store_dwordx4 v[2:3], v[12:15], off
	s_waitcnt lgkmcnt(0)
	global_store_dwordx4 v[4:5], v[16:19], off
	v_lshlrev_b64 v[12:13], 4, v[6:7]
	ds_read_b128 v[0:3], v30 offset:3840
	v_lshlrev_b64 v[14:15], 4, v[8:9]
	v_add_nc_u32_e32 v16, 0x110, v128
	v_mov_b32_e32 v17, v129
	ds_read_b128 v[4:7], v30 offset:4096
	ds_read_b128 v[8:11], v30 offset:4352
	v_add_co_u32 v20, vcc_lo, v31, v12
	v_add_co_ci_u32_e32 v21, vcc_lo, v32, v13, vcc_lo
	v_lshlrev_b64 v[16:17], 4, v[16:17]
	v_add_co_u32 v22, vcc_lo, v31, v14
	v_add_co_ci_u32_e32 v23, vcc_lo, v32, v15, vcc_lo
	ds_read_b128 v[12:15], v30 offset:4608
	v_add_co_u32 v26, vcc_lo, v31, v16
	v_add_co_ci_u32_e32 v27, vcc_lo, v32, v17, vcc_lo
	ds_read_b128 v[16:19], v30 offset:4864
	v_add_nc_u32_e32 v28, 0x130, v128
	v_lshlrev_b64 v[24:25], 4, v[24:25]
	s_waitcnt lgkmcnt(4)
	global_store_dwordx4 v[20:21], v[0:3], off
	s_waitcnt lgkmcnt(3)
	global_store_dwordx4 v[22:23], v[4:7], off
	;; [unrolled: 2-line block ×3, first 2 shown]
	v_lshlrev_b64 v[0:1], 4, v[28:29]
	v_add_nc_u32_e32 v4, 0x140, v128
	v_add_co_u32 v2, vcc_lo, v31, v24
	v_add_co_ci_u32_e32 v3, vcc_lo, v32, v25, vcc_lo
	v_add_co_u32 v0, vcc_lo, v31, v0
	v_add_co_ci_u32_e32 v1, vcc_lo, v32, v1, vcc_lo
	v_mov_b32_e32 v5, v129
	v_add_nc_u32_e32 v8, 0x150, v128
	v_mov_b32_e32 v9, v129
	s_waitcnt lgkmcnt(1)
	global_store_dwordx4 v[2:3], v[12:15], off
	s_waitcnt lgkmcnt(0)
	global_store_dwordx4 v[0:1], v[16:19], off
	v_lshlrev_b64 v[12:13], 4, v[4:5]
	ds_read_b128 v[0:3], v30 offset:5120
	ds_read_b128 v[4:7], v30 offset:5376
	v_lshlrev_b64 v[14:15], 4, v[8:9]
	ds_read_b128 v[8:11], v30 offset:5632
	v_add_nc_u32_e32 v16, 0x160, v128
	v_mov_b32_e32 v17, v129
	v_add_co_u32 v20, vcc_lo, v31, v12
	v_add_co_ci_u32_e32 v21, vcc_lo, v32, v13, vcc_lo
	v_lshlrev_b64 v[12:13], 4, v[16:17]
	v_add_nc_u32_e32 v16, 0x170, v128
	v_add_co_u32 v22, vcc_lo, v31, v14
	v_add_co_ci_u32_e32 v23, vcc_lo, v32, v15, vcc_lo
	v_lshlrev_b64 v[26:27], 4, v[16:17]
	ds_read_b128 v[16:19], v30 offset:6144
	v_add_co_u32 v24, vcc_lo, v31, v12
	v_add_nc_u32_e32 v28, 0x180, v128
	v_add_co_ci_u32_e32 v25, vcc_lo, v32, v13, vcc_lo
	ds_read_b128 v[12:15], v30 offset:5888
	s_waitcnt lgkmcnt(4)
	global_store_dwordx4 v[20:21], v[0:3], off
	s_waitcnt lgkmcnt(3)
	global_store_dwordx4 v[22:23], v[4:7], off
	;; [unrolled: 2-line block ×3, first 2 shown]
	v_lshlrev_b64 v[0:1], 4, v[28:29]
	v_add_co_u32 v2, vcc_lo, v31, v26
	v_add_co_ci_u32_e32 v3, vcc_lo, v32, v27, vcc_lo
	v_add_nc_u32_e32 v4, 0x190, v128
	v_mov_b32_e32 v5, v129
	v_add_co_u32 v6, vcc_lo, v31, v0
	v_add_co_ci_u32_e32 v7, vcc_lo, v32, v1, vcc_lo
	v_add_nc_u32_e32 v8, 0x1a0, v128
	v_mov_b32_e32 v9, v129
	v_lshlrev_b64 v[4:5], 4, v[4:5]
	s_waitcnt lgkmcnt(1)
	global_store_dwordx4 v[6:7], v[16:19], off
	v_add_nc_u32_e32 v24, 0x1c0, v128
	v_mov_b32_e32 v25, v129
	v_lshlrev_b64 v[6:7], 4, v[8:9]
	s_waitcnt lgkmcnt(0)
	global_store_dwordx4 v[2:3], v[12:15], off
	v_add_co_u32 v20, vcc_lo, v31, v4
	v_add_nc_u32_e32 v12, 0x1b0, v128
	v_mov_b32_e32 v13, v129
	v_add_co_ci_u32_e32 v21, vcc_lo, v32, v5, vcc_lo
	v_add_co_u32 v22, vcc_lo, v31, v6
	ds_read_b128 v[0:3], v30 offset:6400
	v_add_co_ci_u32_e32 v23, vcc_lo, v32, v7, vcc_lo
	ds_read_b128 v[4:7], v30 offset:6656
	ds_read_b128 v[8:11], v30 offset:6912
	v_lshlrev_b64 v[26:27], 4, v[12:13]
	ds_read_b128 v[12:15], v30 offset:7168
	ds_read_b128 v[16:19], v30 offset:7424
	v_add_nc_u32_e32 v128, 0x1d0, v128
	v_lshlrev_b64 v[24:25], 4, v[24:25]
	v_add_co_u32 v26, vcc_lo, v31, v26
	v_lshlrev_b64 v[28:29], 4, v[128:129]
	v_add_co_ci_u32_e32 v27, vcc_lo, v32, v27, vcc_lo
	v_add_co_u32 v24, vcc_lo, v31, v24
	v_add_co_ci_u32_e32 v25, vcc_lo, v32, v25, vcc_lo
	v_add_co_u32 v28, vcc_lo, v31, v28
	v_add_co_ci_u32_e32 v29, vcc_lo, v32, v29, vcc_lo
	s_waitcnt lgkmcnt(4)
	global_store_dwordx4 v[20:21], v[0:3], off
	s_waitcnt lgkmcnt(3)
	global_store_dwordx4 v[22:23], v[4:7], off
	;; [unrolled: 2-line block ×5, first 2 shown]
.LBB0_25:
	s_endpgm
	.section	.rodata,"a",@progbits
	.p2align	6, 0x0
	.amdhsa_kernel fft_rtc_back_len480_factors_10_8_6_wgs_64_tpt_16_halfLds_dp_op_CI_CI_unitstride_sbrr_C2R_dirReg
		.amdhsa_group_segment_fixed_size 0
		.amdhsa_private_segment_fixed_size 28
		.amdhsa_kernarg_size 104
		.amdhsa_user_sgpr_count 6
		.amdhsa_user_sgpr_private_segment_buffer 1
		.amdhsa_user_sgpr_dispatch_ptr 0
		.amdhsa_user_sgpr_queue_ptr 0
		.amdhsa_user_sgpr_kernarg_segment_ptr 1
		.amdhsa_user_sgpr_dispatch_id 0
		.amdhsa_user_sgpr_flat_scratch_init 0
		.amdhsa_user_sgpr_private_segment_size 0
		.amdhsa_wavefront_size32 1
		.amdhsa_uses_dynamic_stack 0
		.amdhsa_system_sgpr_private_segment_wavefront_offset 1
		.amdhsa_system_sgpr_workgroup_id_x 1
		.amdhsa_system_sgpr_workgroup_id_y 0
		.amdhsa_system_sgpr_workgroup_id_z 0
		.amdhsa_system_sgpr_workgroup_info 0
		.amdhsa_system_vgpr_workitem_id 0
		.amdhsa_next_free_vgpr 256
		.amdhsa_next_free_sgpr 32
		.amdhsa_reserve_vcc 1
		.amdhsa_reserve_flat_scratch 0
		.amdhsa_float_round_mode_32 0
		.amdhsa_float_round_mode_16_64 0
		.amdhsa_float_denorm_mode_32 3
		.amdhsa_float_denorm_mode_16_64 3
		.amdhsa_dx10_clamp 1
		.amdhsa_ieee_mode 1
		.amdhsa_fp16_overflow 0
		.amdhsa_workgroup_processor_mode 1
		.amdhsa_memory_ordered 1
		.amdhsa_forward_progress 0
		.amdhsa_shared_vgpr_count 0
		.amdhsa_exception_fp_ieee_invalid_op 0
		.amdhsa_exception_fp_denorm_src 0
		.amdhsa_exception_fp_ieee_div_zero 0
		.amdhsa_exception_fp_ieee_overflow 0
		.amdhsa_exception_fp_ieee_underflow 0
		.amdhsa_exception_fp_ieee_inexact 0
		.amdhsa_exception_int_div_zero 0
	.end_amdhsa_kernel
	.text
.Lfunc_end0:
	.size	fft_rtc_back_len480_factors_10_8_6_wgs_64_tpt_16_halfLds_dp_op_CI_CI_unitstride_sbrr_C2R_dirReg, .Lfunc_end0-fft_rtc_back_len480_factors_10_8_6_wgs_64_tpt_16_halfLds_dp_op_CI_CI_unitstride_sbrr_C2R_dirReg
                                        ; -- End function
	.section	.AMDGPU.csdata,"",@progbits
; Kernel info:
; codeLenInByte = 18736
; NumSgprs: 34
; NumVgprs: 256
; ScratchSize: 28
; MemoryBound: 0
; FloatMode: 240
; IeeeMode: 1
; LDSByteSize: 0 bytes/workgroup (compile time only)
; SGPRBlocks: 4
; VGPRBlocks: 31
; NumSGPRsForWavesPerEU: 34
; NumVGPRsForWavesPerEU: 256
; Occupancy: 4
; WaveLimiterHint : 1
; COMPUTE_PGM_RSRC2:SCRATCH_EN: 1
; COMPUTE_PGM_RSRC2:USER_SGPR: 6
; COMPUTE_PGM_RSRC2:TRAP_HANDLER: 0
; COMPUTE_PGM_RSRC2:TGID_X_EN: 1
; COMPUTE_PGM_RSRC2:TGID_Y_EN: 0
; COMPUTE_PGM_RSRC2:TGID_Z_EN: 0
; COMPUTE_PGM_RSRC2:TIDIG_COMP_CNT: 0
	.text
	.p2alignl 6, 3214868480
	.fill 48, 4, 3214868480
	.type	__hip_cuid_64df34b6218240d5,@object ; @__hip_cuid_64df34b6218240d5
	.section	.bss,"aw",@nobits
	.globl	__hip_cuid_64df34b6218240d5
__hip_cuid_64df34b6218240d5:
	.byte	0                               ; 0x0
	.size	__hip_cuid_64df34b6218240d5, 1

	.ident	"AMD clang version 19.0.0git (https://github.com/RadeonOpenCompute/llvm-project roc-6.4.0 25133 c7fe45cf4b819c5991fe208aaa96edf142730f1d)"
	.section	".note.GNU-stack","",@progbits
	.addrsig
	.addrsig_sym __hip_cuid_64df34b6218240d5
	.amdgpu_metadata
---
amdhsa.kernels:
  - .args:
      - .actual_access:  read_only
        .address_space:  global
        .offset:         0
        .size:           8
        .value_kind:     global_buffer
      - .offset:         8
        .size:           8
        .value_kind:     by_value
      - .actual_access:  read_only
        .address_space:  global
        .offset:         16
        .size:           8
        .value_kind:     global_buffer
      - .actual_access:  read_only
        .address_space:  global
        .offset:         24
        .size:           8
        .value_kind:     global_buffer
      - .actual_access:  read_only
        .address_space:  global
        .offset:         32
        .size:           8
        .value_kind:     global_buffer
      - .offset:         40
        .size:           8
        .value_kind:     by_value
      - .actual_access:  read_only
        .address_space:  global
        .offset:         48
        .size:           8
        .value_kind:     global_buffer
      - .actual_access:  read_only
        .address_space:  global
        .offset:         56
        .size:           8
        .value_kind:     global_buffer
      - .offset:         64
        .size:           4
        .value_kind:     by_value
      - .actual_access:  read_only
        .address_space:  global
        .offset:         72
        .size:           8
        .value_kind:     global_buffer
      - .actual_access:  read_only
        .address_space:  global
        .offset:         80
        .size:           8
        .value_kind:     global_buffer
      - .actual_access:  read_only
        .address_space:  global
        .offset:         88
        .size:           8
        .value_kind:     global_buffer
      - .actual_access:  write_only
        .address_space:  global
        .offset:         96
        .size:           8
        .value_kind:     global_buffer
    .group_segment_fixed_size: 0
    .kernarg_segment_align: 8
    .kernarg_segment_size: 104
    .language:       OpenCL C
    .language_version:
      - 2
      - 0
    .max_flat_workgroup_size: 64
    .name:           fft_rtc_back_len480_factors_10_8_6_wgs_64_tpt_16_halfLds_dp_op_CI_CI_unitstride_sbrr_C2R_dirReg
    .private_segment_fixed_size: 28
    .sgpr_count:     34
    .sgpr_spill_count: 0
    .symbol:         fft_rtc_back_len480_factors_10_8_6_wgs_64_tpt_16_halfLds_dp_op_CI_CI_unitstride_sbrr_C2R_dirReg.kd
    .uniform_work_group_size: 1
    .uses_dynamic_stack: false
    .vgpr_count:     256
    .vgpr_spill_count: 6
    .wavefront_size: 32
    .workgroup_processor_mode: 1
amdhsa.target:   amdgcn-amd-amdhsa--gfx1030
amdhsa.version:
  - 1
  - 2
...

	.end_amdgpu_metadata
